;; amdgpu-corpus repo=ROCm/rocFFT kind=compiled arch=gfx1201 opt=O3
	.text
	.amdgcn_target "amdgcn-amd-amdhsa--gfx1201"
	.amdhsa_code_object_version 6
	.protected	bluestein_single_back_len1768_dim1_dp_op_CI_CI ; -- Begin function bluestein_single_back_len1768_dim1_dp_op_CI_CI
	.globl	bluestein_single_back_len1768_dim1_dp_op_CI_CI
	.p2align	8
	.type	bluestein_single_back_len1768_dim1_dp_op_CI_CI,@function
bluestein_single_back_len1768_dim1_dp_op_CI_CI: ; @bluestein_single_back_len1768_dim1_dp_op_CI_CI
; %bb.0:
	s_load_b128 s[4:7], s[0:1], 0x28
	v_mul_u32_u24_e32 v1, 0x1e2, v0
	s_mov_b32 s2, exec_lo
	v_mov_b32_e32 v4, 0
	s_delay_alu instid0(VALU_DEP_2) | instskip(NEXT) | instid1(VALU_DEP_1)
	v_lshrrev_b32_e32 v1, 16, v1
	v_add_nc_u32_e32 v3, ttmp9, v1
	s_delay_alu instid0(VALU_DEP_1)
	v_mov_b32_e32 v2, v3
	scratch_store_b64 off, v[2:3], off offset:4 ; 8-byte Folded Spill
	s_wait_kmcnt 0x0
	v_cmpx_gt_u64_e64 s[4:5], v[3:4]
	s_cbranch_execz .LBB0_23
; %bb.1:
	v_mul_lo_u16 v1, 0x88, v1
	s_clause 0x1
	s_load_b64 s[12:13], s[0:1], 0x0
	s_load_b64 s[14:15], s[0:1], 0x38
	s_delay_alu instid0(VALU_DEP_1) | instskip(NEXT) | instid1(VALU_DEP_1)
	v_sub_nc_u16 v0, v0, v1
	v_and_b32_e32 v1, 0xffff, v0
	v_cmp_gt_u16_e32 vcc_lo, 0x68, v0
	s_delay_alu instid0(VALU_DEP_2)
	v_lshlrev_b32_e32 v255, 4, v1
	v_or_b32_e32 v0, 0x680, v1
	s_clause 0x1
	scratch_store_b32 off, v1, off
	scratch_store_b32 off, v0, off offset:316
	s_and_saveexec_b32 s3, vcc_lo
	s_cbranch_execz .LBB0_3
; %bb.2:
	scratch_load_b64 v[0:1], off, off offset:4 ; 8-byte Folded Reload
	s_load_b64 s[4:5], s[0:1], 0x18
	s_wait_kmcnt 0x0
	s_load_b128 s[8:11], s[4:5], 0x0
	s_wait_kmcnt 0x0
	s_mul_u64 s[4:5], s[8:9], 0x680
	s_wait_loadcnt 0x0
	v_mov_b32_e32 v34, v0
	s_clause 0x1
	global_load_b128 v[0:3], v255, s[12:13]
	global_load_b128 v[4:7], v255, s[12:13] offset:1664
	scratch_load_b32 v35, off, off          ; 4-byte Folded Reload
	s_clause 0x5
	global_load_b128 v[8:11], v255, s[12:13] offset:3328
	global_load_b128 v[12:15], v255, s[12:13] offset:4992
	;; [unrolled: 1-line block ×6, first 2 shown]
	s_wait_loadcnt 0x6
	v_mad_co_u64_u32 v[60:61], null, s8, v35, 0
	v_or_b32_e32 v66, 0x680, v35
	s_delay_alu instid0(VALU_DEP_1) | instskip(NEXT) | instid1(VALU_DEP_3)
	v_mad_co_u64_u32 v[62:63], null, s8, v66, 0
	v_mov_b32_e32 v33, v61
	v_mad_co_u64_u32 v[56:57], null, s10, v34, 0
	s_delay_alu instid0(VALU_DEP_2) | instskip(NEXT) | instid1(VALU_DEP_1)
	v_mad_co_u64_u32 v[58:59], null, s9, v35, v[33:34]
	v_dual_mov_b32 v32, v57 :: v_dual_mov_b32 v61, v58
	s_delay_alu instid0(VALU_DEP_1)
	v_mad_co_u64_u32 v[48:49], null, s11, v34, v[32:33]
	s_clause 0x3
	global_load_b128 v[32:35], v255, s[12:13] offset:13312
	global_load_b128 v[36:39], v255, s[12:13] offset:14976
	;; [unrolled: 1-line block ×4, first 2 shown]
	v_lshlrev_b64_e32 v[60:61], 4, v[60:61]
	v_mov_b32_e32 v57, v48
	s_clause 0x1
	global_load_b128 v[48:51], v255, s[12:13] offset:19968
	global_load_b128 v[52:55], v255, s[12:13] offset:21632
	v_lshlrev_b64_e32 v[64:65], 4, v[56:57]
	global_load_b128 v[56:59], v255, s[12:13] offset:26624
	v_mad_co_u64_u32 v[66:67], null, s9, v66, v[63:64]
	v_add_co_u32 v67, s2, s6, v64
	s_delay_alu instid0(VALU_DEP_1) | instskip(NEXT) | instid1(VALU_DEP_2)
	v_add_co_ci_u32_e64 v70, s2, s7, v65, s2
	v_add_co_u32 v64, s2, v67, v60
	s_wait_alu 0xf1ff
	s_delay_alu instid0(VALU_DEP_2)
	v_add_co_ci_u32_e64 v65, s2, v70, v61, s2
	v_mov_b32_e32 v63, v66
	s_wait_alu 0xfffe
	v_add_co_u32 v68, s2, v64, s4
	s_wait_alu 0xf1ff
	v_add_co_ci_u32_e64 v69, s2, s5, v65, s2
	v_lshlrev_b64_e32 v[60:61], 4, v[62:63]
	s_delay_alu instid0(VALU_DEP_3) | instskip(SKIP_1) | instid1(VALU_DEP_3)
	v_add_co_u32 v72, s2, v68, s4
	s_wait_alu 0xf1ff
	v_add_co_ci_u32_e64 v73, s2, s5, v69, s2
	s_delay_alu instid0(VALU_DEP_3)
	v_add_co_u32 v60, s2, v67, v60
	s_wait_alu 0xf1ff
	v_add_co_ci_u32_e64 v61, s2, v70, v61, s2
	v_add_co_u32 v76, s2, v72, s4
	s_wait_alu 0xf1ff
	v_add_co_ci_u32_e64 v77, s2, s5, v73, s2
	global_load_b128 v[60:63], v[60:61], off
	v_add_co_u32 v80, s2, v76, s4
	s_wait_alu 0xf1ff
	v_add_co_ci_u32_e64 v81, s2, s5, v77, s2
	s_clause 0x1
	global_load_b128 v[64:67], v[64:65], off
	global_load_b128 v[68:71], v[68:69], off
	v_add_co_u32 v84, s2, v80, s4
	s_wait_alu 0xf1ff
	v_add_co_ci_u32_e64 v85, s2, s5, v81, s2
	s_clause 0x1
	global_load_b128 v[72:75], v[72:73], off
	global_load_b128 v[76:79], v[76:77], off
	v_add_co_u32 v88, s2, v84, s4
	s_wait_alu 0xf1ff
	v_add_co_ci_u32_e64 v89, s2, s5, v85, s2
	global_load_b128 v[80:83], v[80:81], off
	v_add_co_u32 v92, s2, v88, s4
	s_wait_alu 0xf1ff
	v_add_co_ci_u32_e64 v93, s2, s5, v89, s2
	;; [unrolled: 4-line block ×10, first 2 shown]
	global_load_b128 v[116:119], v[116:117], off
	global_load_b128 v[120:123], v[120:121], off
	s_clause 0x1
	global_load_b128 v[124:127], v255, s[12:13] offset:23296
	global_load_b128 v[128:131], v255, s[12:13] offset:24960
	global_load_b128 v[132:135], v[132:133], off
	s_wait_loadcnt 0x12
	v_mul_f64_e32 v[138:139], v[62:63], v[58:59]
	v_mul_f64_e32 v[170:171], v[60:61], v[58:59]
	s_wait_loadcnt 0x11
	v_mul_f64_e32 v[136:137], v[66:67], v[2:3]
	v_mul_f64_e32 v[2:3], v[64:65], v[2:3]
	;; [unrolled: 3-line block ×11, first 2 shown]
	v_fma_f64 v[64:65], v[64:65], v[0:1], v[136:137]
	v_fma_f64 v[66:67], v[66:67], v[0:1], -v[2:3]
	v_fma_f64 v[0:1], v[60:61], v[56:57], v[138:139]
	s_wait_loadcnt 0x7
	v_mul_f64_e32 v[158:159], v[106:107], v[42:43]
	v_mul_f64_e32 v[42:43], v[104:105], v[42:43]
	v_fma_f64 v[58:59], v[68:69], v[4:5], v[140:141]
	v_fma_f64 v[60:61], v[70:71], v[4:5], -v[6:7]
	v_fma_f64 v[4:5], v[72:73], v[8:9], v[142:143]
	s_wait_loadcnt 0x6
	v_mul_f64_e32 v[160:161], v[110:111], v[46:47]
	v_mul_f64_e32 v[46:47], v[108:109], v[46:47]
	v_fma_f64 v[6:7], v[74:75], v[8:9], -v[10:11]
	v_fma_f64 v[8:9], v[76:77], v[12:13], v[144:145]
	v_fma_f64 v[10:11], v[78:79], v[12:13], -v[14:15]
	s_wait_loadcnt 0x5
	v_mul_f64_e32 v[162:163], v[114:115], v[50:51]
	v_mul_f64_e32 v[50:51], v[112:113], v[50:51]
	s_wait_loadcnt 0x4
	v_mul_f64_e32 v[164:165], v[118:119], v[54:55]
	v_mul_f64_e32 v[54:55], v[116:117], v[54:55]
	;; [unrolled: 3-line block ×4, first 2 shown]
	v_fma_f64 v[12:13], v[80:81], v[16:17], v[146:147]
	v_fma_f64 v[14:15], v[82:83], v[16:17], -v[18:19]
	v_fma_f64 v[16:17], v[84:85], v[20:21], v[148:149]
	v_fma_f64 v[18:19], v[86:87], v[20:21], -v[22:23]
	;; [unrolled: 2-line block ×4, first 2 shown]
	v_fma_f64 v[2:3], v[62:63], v[56:57], -v[170:171]
	v_fma_f64 v[28:29], v[96:97], v[32:33], v[154:155]
	v_fma_f64 v[30:31], v[98:99], v[32:33], -v[34:35]
	v_fma_f64 v[32:33], v[100:101], v[36:37], v[156:157]
	;; [unrolled: 2-line block ×8, first 2 shown]
	v_fma_f64 v[70:71], v[134:135], v[128:129], -v[130:131]
	ds_store_b128 v255, v[64:67]
	ds_store_b128 v255, v[58:61] offset:1664
	ds_store_b128 v255, v[4:7] offset:3328
	;; [unrolled: 1-line block ×16, first 2 shown]
.LBB0_3:
	s_or_b32 exec_lo, exec_lo, s3
	s_clause 0x1
	s_load_b64 s[4:5], s[0:1], 0x20
	s_load_b64 s[2:3], s[0:1], 0x8
	global_wb scope:SCOPE_SE
	s_wait_storecnt_dscnt 0x0
	s_wait_kmcnt 0x0
	s_barrier_signal -1
	s_barrier_wait -1
	global_inv scope:SCOPE_SE
                                        ; implicit-def: $vgpr4_vgpr5
                                        ; implicit-def: $vgpr20_vgpr21
                                        ; implicit-def: $vgpr28_vgpr29
                                        ; implicit-def: $vgpr44_vgpr45
                                        ; implicit-def: $vgpr52_vgpr53
                                        ; implicit-def: $vgpr56_vgpr57
                                        ; implicit-def: $vgpr40_vgpr41
                                        ; implicit-def: $vgpr12_vgpr13
                                        ; implicit-def: $vgpr8_vgpr9
                                        ; implicit-def: $vgpr16_vgpr17
                                        ; implicit-def: $vgpr68_vgpr69
                                        ; implicit-def: $vgpr64_vgpr65
                                        ; implicit-def: $vgpr60_vgpr61
                                        ; implicit-def: $vgpr48_vgpr49
                                        ; implicit-def: $vgpr36_vgpr37
                                        ; implicit-def: $vgpr32_vgpr33
                                        ; implicit-def: $vgpr24_vgpr25
	s_and_saveexec_b32 s0, vcc_lo
	s_cbranch_execz .LBB0_5
; %bb.4:
	ds_load_b128 v[4:7], v255
	ds_load_b128 v[24:27], v255 offset:1664
	ds_load_b128 v[20:23], v255 offset:3328
	;; [unrolled: 1-line block ×16, first 2 shown]
.LBB0_5:
	s_wait_alu 0xfffe
	s_or_b32 exec_lo, exec_lo, s0
	s_wait_dscnt 0x0
	v_add_f64_e64 v[166:167], v[26:27], -v[10:11]
	s_mov_b32 s0, 0x5d8e7cdc
	s_mov_b32 s1, 0xbfd71e95
	v_add_f64_e32 v[160:161], v[8:9], v[24:25]
	v_add_f64_e64 v[86:87], v[22:23], -v[14:15]
	s_mov_b32 s6, 0x370991
	s_mov_b32 s8, 0x2a9d6da3
	;; [unrolled: 1-line block ×4, first 2 shown]
	v_add_f64_e32 v[72:73], v[20:21], v[12:13]
	v_add_f64_e64 v[178:179], v[24:25], -v[8:9]
	v_add_f64_e64 v[84:85], v[20:21], -v[12:13]
	s_mov_b32 s10, 0x75d4884
	s_mov_b32 s11, 0x3fe7a5f6
	v_add_f64_e32 v[174:175], v[10:11], v[26:27]
	v_add_f64_e32 v[80:81], v[22:23], v[14:15]
	v_add_f64_e64 v[98:99], v[34:35], -v[18:19]
	s_mov_b32 s18, 0x7c9e640b
	s_mov_b32 s19, 0xbfeca52d
	v_add_f64_e32 v[76:77], v[16:17], v[32:33]
	s_mov_b32 s16, 0x2b2883cd
	s_mov_b32 s17, 0x3fdc86fa
	v_add_f64_e64 v[96:97], v[32:33], -v[16:17]
	v_add_f64_e32 v[92:93], v[18:19], v[34:35]
	v_add_f64_e64 v[122:123], v[38:39], -v[42:43]
	s_mov_b32 s22, 0xeb564b22
	s_mov_b32 s23, 0xbfefdd0d
	v_add_f64_e32 v[88:89], v[40:41], v[36:37]
	s_mov_b32 s20, 0x3259b75e
	s_mov_b32 s21, 0x3fb79ee6
	v_add_f64_e64 v[120:121], v[36:37], -v[40:41]
	v_add_f64_e32 v[100:101], v[42:43], v[38:39]
	v_add_f64_e64 v[146:147], v[30:31], -v[70:71]
	s_mov_b32 s36, 0x923c349f
	s_mov_b32 s37, 0x3feec746
	;; [unrolled: 1-line block ×4, first 2 shown]
	v_add_f64_e32 v[104:105], v[28:29], v[68:69]
	s_wait_alu 0xfffe
	v_mul_f64_e32 v[162:163], s[0:1], v[166:167]
	s_mov_b32 s24, 0xc61f0d01
	s_mov_b32 s25, 0xbfd183b1
	v_add_f64_e64 v[136:137], v[28:29], -v[68:69]
	v_mul_f64_e32 v[2:3], s[8:9], v[86:87]
	v_add_f64_e32 v[128:129], v[30:31], v[70:71]
	v_add_f64_e64 v[164:165], v[50:51], -v[66:67]
	s_mov_b32 s42, 0x6c9a05f6
	s_mov_b32 s43, 0xbfe9895b
	v_add_f64_e32 v[124:125], v[64:65], v[48:49]
	v_mul_f64_e32 v[176:177], s[0:1], v[178:179]
	v_mul_f64_e32 v[74:75], s[8:9], v[84:85]
	s_mov_b32 s28, 0x6ed5f1bb
	s_mov_b32 s29, 0xbfe348c8
	v_add_f64_e64 v[152:153], v[48:49], -v[64:65]
	v_add_f64_e32 v[138:139], v[66:67], v[50:51]
	v_add_f64_e64 v[170:171], v[46:47], -v[58:59]
	s_mov_b32 s40, 0x4363dd80
	s_mov_b32 s41, 0x3fe0d888
	;; [unrolled: 1-line block ×4, first 2 shown]
	v_add_f64_e32 v[132:133], v[44:45], v[56:57]
	v_add_f64_e64 v[158:159], v[44:45], -v[56:57]
	s_mov_b32 s30, 0x910ea3b9
	s_mov_b32 s31, 0xbfeb34fa
	v_add_f64_e32 v[148:149], v[46:47], v[58:59]
	v_add_f64_e64 v[172:173], v[54:55], -v[62:63]
	s_mov_b32 s44, 0xacd6c6b4
	s_mov_b32 s45, 0xbfc7851a
	;; [unrolled: 4-line block ×3, first 2 shown]
	v_add_f64_e32 v[154:155], v[54:55], v[62:63]
	v_mul_f64_e32 v[102:103], s[8:9], v[166:167]
	v_mul_f64_e32 v[180:181], s[22:23], v[86:87]
	;; [unrolled: 1-line block ×4, first 2 shown]
	v_fma_f64 v[0:1], v[160:161], s[6:7], v[162:163]
	v_mul_f64_e32 v[182:183], s[42:43], v[98:99]
	v_mul_f64_e32 v[190:191], s[42:43], v[96:97]
	;; [unrolled: 1-line block ×3, first 2 shown]
	scratch_store_b64 off, v[2:3], off offset:28 ; 8-byte Folded Spill
	v_fma_f64 v[2:3], v[72:73], s[10:11], v[2:3]
	v_mul_f64_e32 v[201:202], s[44:45], v[120:121]
	v_mul_f64_e32 v[197:198], s[40:41], v[146:147]
	v_mul_f64_e32 v[215:216], s[40:41], v[136:137]
	v_mul_f64_e32 v[211:212], s[36:37], v[164:165]
	s_mov_b32 s47, 0x3feca52d
	scratch_store_b64 off, v[74:75], off offset:60 ; 8-byte Folded Spill
	v_fma_f64 v[74:75], v[80:81], s[10:11], -v[74:75]
	s_mov_b32 s46, s18
	v_mul_f64_e32 v[233:234], s[36:37], v[152:153]
	s_mov_b32 s49, 0x3fd71e95
	v_mul_f64_e32 v[193:194], s[46:47], v[170:171]
	;; [unrolled: 2-line block ×3, first 2 shown]
	v_mul_f64_e32 v[188:189], s[42:43], v[86:87]
	v_mul_f64_e32 v[130:131], s[18:19], v[178:179]
	;; [unrolled: 1-line block ×5, first 2 shown]
	s_mov_b32 s51, 0x3fc7851a
	s_mov_b32 s50, s44
	v_mul_f64_e32 v[195:196], s[48:49], v[172:173]
	v_mul_f64_e32 v[199:200], s[50:51], v[98:99]
	v_mul_f64_e32 v[219:220], s[50:51], v[96:97]
	v_mul_f64_e32 v[203:204], s[36:37], v[122:123]
	v_mul_f64_e32 v[156:157], s[44:45], v[168:169]
	v_mul_f64_e32 v[213:214], s[48:49], v[168:169]
	v_mul_f64_e32 v[235:236], s[36:37], v[120:121]
	s_mov_b32 s53, 0x3fe58eea
	s_mov_b32 s52, s8
	v_fma_f64 v[78:79], v[72:73], s[20:21], v[180:181]
	v_mul_f64_e32 v[231:232], s[52:53], v[146:147]
	v_fma_f64 v[82:83], v[80:81], s[20:21], -v[186:187]
	v_add_f64_e32 v[0:1], v[4:5], v[0:1]
	v_mul_f64_e32 v[249:250], s[52:53], v[136:137]
	v_mul_f64_e32 v[245:246], s[0:1], v[164:165]
	;; [unrolled: 1-line block ×15, first 2 shown]
	s_mov_b32 s55, 0x3fe9895b
	s_mov_b32 s54, s42
	v_mul_f64_e32 v[253:254], s[52:53], v[168:169]
	v_mul_f64_e32 v[247:248], s[54:55], v[170:171]
	v_add_f64_e32 v[0:1], v[2:3], v[0:1]
	v_fma_f64 v[2:3], v[174:175], s[6:7], -v[176:177]
	s_delay_alu instid0(VALU_DEP_1) | instskip(NEXT) | instid1(VALU_DEP_1)
	v_add_f64_e32 v[2:3], v[6:7], v[2:3]
	v_add_f64_e32 v[2:3], v[74:75], v[2:3]
	v_mul_f64_e32 v[74:75], s[18:19], v[98:99]
	scratch_store_b64 off, v[74:75], off offset:44 ; 8-byte Folded Spill
	v_fma_f64 v[74:75], v[76:77], s[16:17], v[74:75]
	s_delay_alu instid0(VALU_DEP_1) | instskip(SKIP_3) | instid1(VALU_DEP_1)
	v_add_f64_e32 v[0:1], v[74:75], v[0:1]
	v_mul_f64_e32 v[74:75], s[18:19], v[96:97]
	scratch_store_b64 off, v[74:75], off offset:92 ; 8-byte Folded Spill
	v_fma_f64 v[74:75], v[92:93], s[16:17], -v[74:75]
	v_add_f64_e32 v[2:3], v[74:75], v[2:3]
	v_mul_f64_e32 v[74:75], s[22:23], v[122:123]
	scratch_store_b64 off, v[74:75], off offset:76 ; 8-byte Folded Spill
	v_fma_f64 v[74:75], v[88:89], s[20:21], v[74:75]
	s_delay_alu instid0(VALU_DEP_1) | instskip(SKIP_3) | instid1(VALU_DEP_1)
	v_add_f64_e32 v[0:1], v[74:75], v[0:1]
	v_mul_f64_e32 v[74:75], s[22:23], v[120:121]
	scratch_store_b64 off, v[74:75], off offset:108 ; 8-byte Folded Spill
	v_fma_f64 v[74:75], v[100:101], s[20:21], -v[74:75]
	;; [unrolled: 9-line block ×4, first 2 shown]
	v_add_f64_e32 v[2:3], v[74:75], v[2:3]
	v_mul_f64_e32 v[74:75], s[38:39], v[170:171]
	scratch_store_b64 off, v[74:75], off offset:172 ; 8-byte Folded Spill
	v_fma_f64 v[74:75], v[132:133], s[30:31], v[74:75]
	s_delay_alu instid0(VALU_DEP_1) | instskip(SKIP_1) | instid1(VALU_DEP_1)
	v_add_f64_e32 v[0:1], v[74:75], v[0:1]
	v_fma_f64 v[74:75], v[148:149], s[30:31], -v[150:151]
	v_add_f64_e32 v[2:3], v[74:75], v[2:3]
	v_mul_f64_e32 v[74:75], s[44:45], v[172:173]
	scratch_store_b64 off, v[74:75], off offset:204 ; 8-byte Folded Spill
	v_fma_f64 v[74:75], v[142:143], s[34:35], v[74:75]
	s_delay_alu instid0(VALU_DEP_1) | instskip(SKIP_1) | instid1(VALU_DEP_1)
	v_add_f64_e32 v[0:1], v[74:75], v[0:1]
	v_fma_f64 v[74:75], v[154:155], s[34:35], -v[156:157]
	v_add_f64_e32 v[2:3], v[74:75], v[2:3]
	v_fma_f64 v[74:75], v[160:161], s[10:11], v[102:103]
	scratch_store_b128 off, v[0:3], off offset:12 ; 16-byte Folded Spill
	v_add_f64_e32 v[74:75], v[4:5], v[74:75]
	global_wb scope:SCOPE_SE
	s_wait_storecnt 0x0
	s_barrier_signal -1
	s_barrier_wait -1
	global_inv scope:SCOPE_SE
	v_add_f64_e32 v[74:75], v[78:79], v[74:75]
	v_fma_f64 v[78:79], v[174:175], s[10:11], -v[106:107]
	s_delay_alu instid0(VALU_DEP_1) | instskip(NEXT) | instid1(VALU_DEP_1)
	v_add_f64_e32 v[78:79], v[6:7], v[78:79]
	v_add_f64_e32 v[78:79], v[82:83], v[78:79]
	v_fma_f64 v[82:83], v[76:77], s[28:29], v[182:183]
	s_delay_alu instid0(VALU_DEP_1) | instskip(SKIP_1) | instid1(VALU_DEP_1)
	v_add_f64_e32 v[74:75], v[82:83], v[74:75]
	v_fma_f64 v[82:83], v[92:93], s[28:29], -v[190:191]
	v_add_f64_e32 v[78:79], v[82:83], v[78:79]
	v_fma_f64 v[82:83], v[88:89], s[34:35], v[184:185]
	s_delay_alu instid0(VALU_DEP_1) | instskip(SKIP_1) | instid1(VALU_DEP_1)
	v_add_f64_e32 v[74:75], v[82:83], v[74:75]
	v_fma_f64 v[82:83], v[100:101], s[34:35], -v[201:202]
	;; [unrolled: 5-line block ×5, first 2 shown]
	v_add_f64_e32 v[78:79], v[82:83], v[78:79]
	v_fma_f64 v[82:83], v[142:143], s[6:7], v[195:196]
	s_delay_alu instid0(VALU_DEP_1) | instskip(SKIP_2) | instid1(VALU_DEP_2)
	v_add_f64_e32 v[108:109], v[82:83], v[74:75]
	v_fma_f64 v[74:75], v[154:155], s[6:7], -v[213:214]
	v_fma_f64 v[82:83], v[80:81], s[28:29], -v[207:208]
	v_add_f64_e32 v[110:111], v[74:75], v[78:79]
	v_fma_f64 v[74:75], v[160:161], s[16:17], v[126:127]
	v_fma_f64 v[78:79], v[72:73], s[28:29], v[188:189]
	s_delay_alu instid0(VALU_DEP_2) | instskip(NEXT) | instid1(VALU_DEP_1)
	v_add_f64_e32 v[74:75], v[4:5], v[74:75]
	v_add_f64_e32 v[74:75], v[78:79], v[74:75]
	v_fma_f64 v[78:79], v[174:175], s[16:17], -v[130:131]
	s_delay_alu instid0(VALU_DEP_1) | instskip(NEXT) | instid1(VALU_DEP_1)
	v_add_f64_e32 v[78:79], v[6:7], v[78:79]
	v_add_f64_e32 v[78:79], v[82:83], v[78:79]
	v_fma_f64 v[82:83], v[76:77], s[34:35], v[199:200]
	s_delay_alu instid0(VALU_DEP_1) | instskip(SKIP_1) | instid1(VALU_DEP_1)
	v_add_f64_e32 v[74:75], v[82:83], v[74:75]
	v_fma_f64 v[82:83], v[92:93], s[34:35], -v[219:220]
	v_add_f64_e32 v[78:79], v[82:83], v[78:79]
	v_fma_f64 v[82:83], v[88:89], s[24:25], v[203:204]
	s_delay_alu instid0(VALU_DEP_1) | instskip(SKIP_1) | instid1(VALU_DEP_1)
	v_add_f64_e32 v[74:75], v[82:83], v[74:75]
	v_fma_f64 v[82:83], v[100:101], s[24:25], -v[235:236]
	;; [unrolled: 5-line block ×3, first 2 shown]
	v_add_f64_e32 v[82:83], v[82:83], v[78:79]
	v_fma_f64 v[78:79], v[124:125], s[6:7], v[245:246]
	s_delay_alu instid0(VALU_DEP_1) | instskip(SKIP_1) | instid1(VALU_DEP_1)
	v_add_f64_e32 v[74:75], v[78:79], v[74:75]
	v_mul_f64_e32 v[78:79], s[0:1], v[152:153]
	v_fma_f64 v[90:91], v[138:139], s[6:7], -v[78:79]
	s_delay_alu instid0(VALU_DEP_1) | instskip(SKIP_1) | instid1(VALU_DEP_1)
	v_add_f64_e32 v[82:83], v[90:91], v[82:83]
	v_fma_f64 v[90:91], v[132:133], s[20:21], v[223:224]
	v_add_f64_e32 v[74:75], v[90:91], v[74:75]
	v_fma_f64 v[90:91], v[148:149], s[20:21], -v[237:238]
	s_delay_alu instid0(VALU_DEP_1) | instskip(SKIP_1) | instid1(VALU_DEP_1)
	v_add_f64_e32 v[82:83], v[90:91], v[82:83]
	v_fma_f64 v[90:91], v[142:143], s[30:31], v[217:218]
	v_add_f64_e32 v[112:113], v[90:91], v[74:75]
	v_fma_f64 v[74:75], v[154:155], s[30:31], -v[239:240]
	v_fma_f64 v[90:91], v[80:81], s[34:35], -v[227:228]
	s_delay_alu instid0(VALU_DEP_2) | instskip(SKIP_2) | instid1(VALU_DEP_2)
	v_add_f64_e32 v[114:115], v[74:75], v[82:83]
	v_fma_f64 v[74:75], v[160:161], s[20:21], v[134:135]
	v_fma_f64 v[82:83], v[72:73], s[34:35], v[209:210]
	v_add_f64_e32 v[74:75], v[4:5], v[74:75]
	s_delay_alu instid0(VALU_DEP_1) | instskip(SKIP_1) | instid1(VALU_DEP_1)
	v_add_f64_e32 v[74:75], v[82:83], v[74:75]
	v_fma_f64 v[82:83], v[174:175], s[20:21], -v[140:141]
	v_add_f64_e32 v[82:83], v[6:7], v[82:83]
	s_delay_alu instid0(VALU_DEP_1) | instskip(SKIP_1) | instid1(VALU_DEP_1)
	v_add_f64_e32 v[82:83], v[90:91], v[82:83]
	v_fma_f64 v[90:91], v[76:77], s[24:25], v[221:222]
	v_add_f64_e32 v[74:75], v[90:91], v[74:75]
	v_fma_f64 v[90:91], v[92:93], s[24:25], -v[241:242]
	s_delay_alu instid0(VALU_DEP_1) | instskip(SKIP_1) | instid1(VALU_DEP_1)
	v_add_f64_e32 v[82:83], v[90:91], v[82:83]
	v_fma_f64 v[90:91], v[88:89], s[6:7], v[225:226]
	v_add_f64_e32 v[74:75], v[90:91], v[74:75]
	v_fma_f64 v[90:91], v[100:101], s[6:7], -v[251:252]
	s_delay_alu instid0(VALU_DEP_1) | instskip(SKIP_1) | instid1(VALU_DEP_1)
	v_add_f64_e32 v[90:91], v[90:91], v[82:83]
	v_fma_f64 v[82:83], v[104:105], s[16:17], v[229:230]
	v_add_f64_e32 v[94:95], v[82:83], v[74:75]
	v_mul_f64_e32 v[82:83], s[18:19], v[136:137]
	s_delay_alu instid0(VALU_DEP_1) | instskip(NEXT) | instid1(VALU_DEP_1)
	v_fma_f64 v[74:75], v[128:129], s[16:17], -v[82:83]
	v_add_f64_e32 v[116:117], v[74:75], v[90:91]
	v_mul_f64_e32 v[74:75], s[38:39], v[164:165]
	s_delay_alu instid0(VALU_DEP_1) | instskip(NEXT) | instid1(VALU_DEP_1)
	v_fma_f64 v[90:91], v[124:125], s[30:31], v[74:75]
	v_add_f64_e32 v[94:95], v[90:91], v[94:95]
	v_mul_f64_e32 v[90:91], s[38:39], v[152:153]
	s_delay_alu instid0(VALU_DEP_1) | instskip(NEXT) | instid1(VALU_DEP_1)
	v_fma_f64 v[118:119], v[138:139], s[30:31], -v[90:91]
	v_add_f64_e32 v[116:117], v[118:119], v[116:117]
	v_fma_f64 v[118:119], v[132:133], s[28:29], v[247:248]
	s_delay_alu instid0(VALU_DEP_1) | instskip(SKIP_1) | instid1(VALU_DEP_1)
	v_add_f64_e32 v[118:119], v[118:119], v[94:95]
	v_mul_f64_e32 v[94:95], s[54:55], v[158:159]
	v_fma_f64 v[243:244], v[148:149], s[28:29], -v[94:95]
	s_delay_alu instid0(VALU_DEP_1) | instskip(SKIP_1) | instid1(VALU_DEP_1)
	v_add_f64_e32 v[144:145], v[243:244], v[116:117]
	v_mul_f64_e32 v[243:244], s[52:53], v[172:173]
	v_fma_f64 v[116:117], v[142:143], s[10:11], v[243:244]
	s_delay_alu instid0(VALU_DEP_1) | instskip(SKIP_1) | instid1(VALU_DEP_1)
	v_add_f64_e32 v[116:117], v[116:117], v[118:119]
	v_fma_f64 v[118:119], v[154:155], s[10:11], -v[253:254]
	v_add_f64_e32 v[118:119], v[118:119], v[144:145]
	s_and_saveexec_b32 s33, vcc_lo
	s_cbranch_execz .LBB0_7
; %bb.6:
	v_add_f64_e32 v[24:25], v[4:5], v[24:25]
	v_add_f64_e32 v[26:27], v[6:7], v[26:27]
	s_mov_b32 s57, 0x3fefdd0d
	s_mov_b32 s56, s22
	scratch_load_b64 v[0:1], off, off offset:188 th:TH_LOAD_LU ; 8-byte Folded Reload
	v_mul_f64_e32 v[144:145], s[56:57], v[172:173]
	v_add_f64_e32 v[20:21], v[20:21], v[24:25]
	v_add_f64_e32 v[22:23], v[22:23], v[26:27]
	v_mul_f64_e32 v[24:25], s[24:25], v[174:175]
	s_delay_alu instid0(VALU_DEP_3) | instskip(NEXT) | instid1(VALU_DEP_3)
	v_add_f64_e32 v[20:21], v[32:33], v[20:21]
	v_add_f64_e32 v[22:23], v[34:35], v[22:23]
	v_mul_f64_e32 v[32:33], s[16:17], v[174:175]
	v_mul_f64_e32 v[34:35], s[16:17], v[160:161]
	v_fma_f64 v[26:27], v[178:179], s[36:37], v[24:25]
	v_fma_f64 v[24:25], v[178:179], s[26:27], v[24:25]
	v_add_f64_e32 v[20:21], v[36:37], v[20:21]
	v_add_f64_e32 v[22:23], v[38:39], v[22:23]
	v_mul_f64_e32 v[38:39], s[10:11], v[160:161]
	v_add_f64_e32 v[32:33], v[130:131], v[32:33]
	v_add_f64_e64 v[34:35], v[34:35], -v[126:127]
	v_mul_f64_e32 v[36:37], s[10:11], v[174:175]
	v_add_f64_e32 v[20:21], v[28:29], v[20:21]
	v_add_f64_e32 v[22:23], v[30:31], v[22:23]
	v_mul_f64_e32 v[30:31], s[20:21], v[160:161]
	v_add_f64_e64 v[38:39], v[38:39], -v[102:103]
	v_mul_f64_e32 v[28:29], s[20:21], v[174:175]
	v_add_f64_e32 v[36:37], v[106:107], v[36:37]
	v_add_f64_e32 v[20:21], v[48:49], v[20:21]
	;; [unrolled: 1-line block ×3, first 2 shown]
	v_mul_f64_e32 v[48:49], s[26:27], v[166:167]
	v_add_f64_e64 v[30:31], v[30:31], -v[134:135]
	v_add_f64_e32 v[28:29], v[140:141], v[28:29]
	v_mul_f64_e32 v[140:141], s[20:21], v[154:155]
	v_add_f64_e32 v[20:21], v[44:45], v[20:21]
	v_add_f64_e32 v[22:23], v[46:47], v[22:23]
	v_mul_f64_e32 v[44:45], s[38:39], v[166:167]
	v_mul_f64_e32 v[46:47], s[42:43], v[166:167]
	v_add_f64_e32 v[30:31], v[4:5], v[30:31]
	v_add_f64_e32 v[28:29], v[6:7], v[28:29]
	v_add_f64_e32 v[20:21], v[52:53], v[20:21]
	v_add_f64_e32 v[22:23], v[54:55], v[22:23]
	v_fma_f64 v[52:53], v[160:161], s[30:31], v[44:45]
	v_fma_f64 v[44:45], v[160:161], s[30:31], -v[44:45]
	v_fma_f64 v[54:55], v[160:161], s[28:29], v[46:47]
	v_fma_f64 v[46:47], v[160:161], s[28:29], -v[46:47]
	v_add_f64_e32 v[20:21], v[60:61], v[20:21]
	v_add_f64_e32 v[22:23], v[62:63], v[22:23]
	;; [unrolled: 1-line block ×8, first 2 shown]
	v_mul_f64_e32 v[58:59], s[6:7], v[160:161]
	v_fma_f64 v[56:57], v[160:161], s[24:25], v[48:49]
	v_fma_f64 v[48:49], v[160:161], s[24:25], -v[48:49]
	v_add_f64_e32 v[20:21], v[64:65], v[20:21]
	v_add_f64_e32 v[22:23], v[66:67], v[22:23]
	v_add_f64_e64 v[58:59], v[58:59], -v[162:163]
	v_add_f64_e32 v[66:67], v[6:7], v[26:27]
	v_add_f64_e32 v[56:57], v[4:5], v[56:57]
	v_add_f64_e32 v[48:49], v[4:5], v[48:49]
	v_add_f64_e32 v[26:27], v[4:5], v[34:35]
	v_mul_f64_e32 v[162:163], s[24:25], v[154:155]
	v_add_f64_e32 v[20:21], v[68:69], v[20:21]
	v_add_f64_e32 v[22:23], v[70:71], v[22:23]
	;; [unrolled: 1-line block ×5, first 2 shown]
	v_mul_f64_e32 v[32:33], s[30:31], v[92:93]
	v_add_f64_e32 v[20:21], v[40:41], v[20:21]
	v_add_f64_e32 v[22:23], v[42:43], v[22:23]
	v_mul_f64_e32 v[42:43], s[44:45], v[166:167]
	v_mul_f64_e32 v[40:41], s[6:7], v[174:175]
	v_mul_f64_e32 v[166:167], s[26:27], v[172:173]
	v_fma_f64 v[34:35], v[96:97], s[40:41], v[32:33]
	v_add_f64_e32 v[16:17], v[16:17], v[20:21]
	v_add_f64_e32 v[18:19], v[18:19], v[22:23]
	v_mul_f64_e32 v[20:21], s[28:29], v[174:175]
	v_fma_f64 v[50:51], v[160:161], s[34:35], v[42:43]
	v_fma_f64 v[42:43], v[160:161], s[34:35], -v[42:43]
	v_add_f64_e32 v[40:41], v[176:177], v[40:41]
	v_mul_f64_e32 v[160:161], s[52:53], v[170:171]
	v_mul_f64_e32 v[176:177], s[24:25], v[124:125]
	v_add_f64_e32 v[12:13], v[12:13], v[16:17]
	v_mul_f64_e32 v[16:17], s[30:31], v[174:175]
	v_add_f64_e32 v[14:15], v[14:15], v[18:19]
	v_fma_f64 v[22:23], v[178:179], s[54:55], v[20:21]
	v_add_f64_e32 v[50:51], v[4:5], v[50:51]
	v_add_f64_e32 v[42:43], v[4:5], v[42:43]
	v_fma_f64 v[20:21], v[178:179], s[42:43], v[20:21]
	v_add_f64_e32 v[70:71], v[6:7], v[40:41]
	v_add_f64_e64 v[176:177], v[176:177], -v[211:212]
	v_add_f64_e32 v[8:9], v[8:9], v[12:13]
	v_mul_f64_e32 v[12:13], s[34:35], v[174:175]
	v_fma_f64 v[18:19], v[178:179], s[40:41], v[16:17]
	v_fma_f64 v[16:17], v[178:179], s[38:39], v[16:17]
	v_add_f64_e32 v[10:11], v[10:11], v[14:15]
	v_add_f64_e32 v[62:63], v[6:7], v[22:23]
	;; [unrolled: 1-line block ×5, first 2 shown]
	v_mul_f64_e32 v[174:175], s[20:21], v[80:81]
	v_fma_f64 v[14:15], v[178:179], s[50:51], v[12:13]
	v_fma_f64 v[12:13], v[178:179], s[44:45], v[12:13]
	v_add_f64_e32 v[60:61], v[6:7], v[16:17]
	v_mul_f64_e32 v[16:17], s[6:7], v[80:81]
	v_add_f64_e32 v[18:19], v[6:7], v[18:19]
	v_mul_f64_e32 v[178:179], s[30:31], v[104:105]
	;; [unrolled: 2-line block ×3, first 2 shown]
	v_add_f64_e32 v[14:15], v[6:7], v[14:15]
	v_add_f64_e32 v[12:13], v[6:7], v[12:13]
	v_fma_f64 v[4:5], v[84:85], s[0:1], v[16:17]
	v_fma_f64 v[16:17], v[84:85], s[48:49], v[16:17]
	v_add_f64_e64 v[178:179], v[178:179], -v[197:198]
	v_add_f64_e32 v[20:21], v[174:175], v[20:21]
	v_add_f64_e64 v[180:181], v[186:187], -v[180:181]
	v_mul_f64_e32 v[186:187], s[28:29], v[76:77]
	v_mul_f64_e32 v[174:175], s[34:35], v[88:89]
	v_add_f64_e32 v[4:5], v[4:5], v[14:15]
	v_mul_f64_e32 v[14:15], s[48:49], v[86:87]
	v_add_f64_e32 v[12:13], v[16:17], v[12:13]
	v_fma_f64 v[16:17], v[96:97], s[38:39], v[32:33]
	v_fma_f64 v[32:33], v[142:143], s[20:21], -v[144:145]
	v_add_f64_e32 v[22:23], v[180:181], v[22:23]
	v_add_f64_e64 v[182:183], v[186:187], -v[182:183]
	v_add_f64_e64 v[174:175], v[174:175], -v[184:185]
	v_mul_f64_e32 v[180:181], s[34:35], v[76:77]
	v_mul_f64_e32 v[184:185], s[28:29], v[154:155]
	;; [unrolled: 1-line block ×4, first 2 shown]
	v_add_f64_e32 v[4:5], v[34:35], v[4:5]
	v_fma_f64 v[6:7], v[72:73], s[6:7], v[14:15]
	v_mul_f64_e32 v[34:35], s[38:39], v[98:99]
	v_fma_f64 v[14:15], v[72:73], s[6:7], -v[14:15]
	v_add_f64_e32 v[12:13], v[16:17], v[12:13]
	v_add_f64_e32 v[22:23], v[182:183], v[22:23]
	v_mul_f64_e32 v[182:183], s[0:1], v[170:171]
	v_add_f64_e64 v[180:181], v[180:181], -v[199:200]
	v_mul_f64_e32 v[198:199], s[16:17], v[154:155]
	v_add_f64_e32 v[6:7], v[6:7], v[50:51]
	v_fma_f64 v[36:37], v[76:77], s[30:31], v[34:35]
	v_add_f64_e32 v[14:15], v[14:15], v[42:43]
	v_fma_f64 v[16:17], v[76:77], s[30:31], -v[34:35]
	v_mul_f64_e32 v[42:43], s[46:47], v[86:87]
	v_mul_f64_e32 v[34:35], s[30:31], v[128:129]
	v_add_f64_e32 v[22:23], v[174:175], v[22:23]
	v_mul_f64_e32 v[174:175], s[6:7], v[124:125]
	v_add_f64_e32 v[6:7], v[36:37], v[6:7]
	;; [unrolled: 2-line block ×3, first 2 shown]
	v_add_f64_e32 v[34:35], v[215:216], v[34:35]
	v_add_f64_e32 v[22:23], v[178:179], v[22:23]
	v_mul_f64_e32 v[178:179], s[28:29], v[72:73]
	v_add_f64_e64 v[174:175], v[174:175], -v[245:246]
	v_fma_f64 v[38:39], v[120:121], s[8:9], v[36:37]
	v_fma_f64 v[16:17], v[120:121], s[52:53], v[36:37]
	v_mul_f64_e32 v[36:37], s[34:35], v[100:101]
	v_add_f64_e32 v[22:23], v[176:177], v[22:23]
	v_add_f64_e64 v[178:179], v[178:179], -v[188:189]
	v_mul_f64_e32 v[176:177], s[10:11], v[104:105]
	v_mul_f64_e32 v[188:189], s[24:25], v[80:81]
	v_add_f64_e32 v[4:5], v[38:39], v[4:5]
	v_mul_f64_e32 v[38:39], s[52:53], v[122:123]
	v_add_f64_e32 v[12:13], v[16:17], v[12:13]
	v_add_f64_e32 v[36:37], v[201:202], v[36:37]
	;; [unrolled: 1-line block ×3, first 2 shown]
	v_add_f64_e64 v[176:177], v[176:177], -v[231:232]
	v_mul_f64_e32 v[178:179], s[56:57], v[164:165]
	v_fma_f64 v[40:41], v[88:89], s[10:11], v[38:39]
	v_fma_f64 v[16:17], v[88:89], s[10:11], -v[38:39]
	v_mul_f64_e32 v[38:39], s[28:29], v[92:93]
	v_add_f64_e32 v[26:27], v[180:181], v[26:27]
	v_mul_f64_e32 v[180:181], s[6:7], v[148:149]
	v_add_f64_e32 v[6:7], v[40:41], v[6:7]
	v_mul_f64_e32 v[40:41], s[28:29], v[128:129]
	v_add_f64_e32 v[14:15], v[16:17], v[14:15]
	v_add_f64_e32 v[38:39], v[190:191], v[38:39]
	s_delay_alu instid0(VALU_DEP_3) | instskip(SKIP_2) | instid1(VALU_DEP_4)
	v_fma_f64 v[50:51], v[136:137], s[54:55], v[40:41]
	v_fma_f64 v[16:17], v[136:137], s[42:43], v[40:41]
	v_mul_f64_e32 v[40:41], s[16:17], v[80:81]
	v_add_f64_e32 v[20:21], v[38:39], v[20:21]
	v_mul_f64_e32 v[38:39], s[16:17], v[148:149]
	v_add_f64_e32 v[4:5], v[50:51], v[4:5]
	;; [unrolled: 2-line block ×3, first 2 shown]
	v_add_f64_e32 v[20:21], v[36:37], v[20:21]
	v_mul_f64_e32 v[36:37], s[16:17], v[132:133]
	v_add_f64_e32 v[38:39], v[205:206], v[38:39]
	v_fma_f64 v[102:103], v[104:105], s[28:29], v[50:51]
	v_fma_f64 v[16:17], v[104:105], s[28:29], -v[50:51]
	v_mul_f64_e32 v[50:51], s[20:21], v[92:93]
	v_add_f64_e32 v[20:21], v[34:35], v[20:21]
	v_add_f64_e64 v[36:37], v[36:37], -v[193:194]
	v_mul_f64_e32 v[34:35], s[6:7], v[154:155]
	v_add_f64_e32 v[6:7], v[102:103], v[6:7]
	v_mul_f64_e32 v[102:103], s[16:17], v[138:139]
	v_add_f64_e32 v[14:15], v[16:17], v[14:15]
	v_add_f64_e32 v[36:37], v[36:37], v[22:23]
	;; [unrolled: 1-line block ×3, first 2 shown]
	s_delay_alu instid0(VALU_DEP_4) | instskip(SKIP_2) | instid1(VALU_DEP_3)
	v_fma_f64 v[106:107], v[152:153], s[18:19], v[102:103]
	v_fma_f64 v[16:17], v[152:153], s[46:47], v[102:103]
	v_mul_f64_e32 v[102:103], s[28:29], v[100:101]
	v_add_f64_e32 v[4:5], v[106:107], v[4:5]
	v_mul_f64_e32 v[106:107], s[46:47], v[164:165]
	s_delay_alu instid0(VALU_DEP_4) | instskip(NEXT) | instid1(VALU_DEP_2)
	v_add_f64_e32 v[12:13], v[16:17], v[12:13]
	v_fma_f64 v[126:127], v[124:125], s[16:17], v[106:107]
	v_fma_f64 v[16:17], v[124:125], s[16:17], -v[106:107]
	v_mul_f64_e32 v[106:107], s[54:55], v[122:123]
	s_delay_alu instid0(VALU_DEP_3) | instskip(SKIP_1) | instid1(VALU_DEP_4)
	v_add_f64_e32 v[6:7], v[126:127], v[6:7]
	v_mul_f64_e32 v[126:127], s[24:25], v[148:149]
	v_add_f64_e32 v[14:15], v[16:17], v[14:15]
	s_delay_alu instid0(VALU_DEP_2) | instskip(SKIP_2) | instid1(VALU_DEP_3)
	v_fma_f64 v[130:131], v[158:159], s[36:37], v[126:127]
	v_fma_f64 v[16:17], v[158:159], s[26:27], v[126:127]
	v_mul_f64_e32 v[126:127], s[6:7], v[128:129]
	v_add_f64_e32 v[4:5], v[130:131], v[4:5]
	v_mul_f64_e32 v[130:131], s[26:27], v[170:171]
	s_delay_alu instid0(VALU_DEP_4) | instskip(SKIP_1) | instid1(VALU_DEP_3)
	v_add_f64_e32 v[12:13], v[16:17], v[12:13]
	v_mul_f64_e32 v[170:171], s[44:45], v[170:171]
	v_fma_f64 v[16:17], v[132:133], s[24:25], -v[130:131]
	v_fma_f64 v[134:135], v[132:133], s[24:25], v[130:131]
	v_mul_f64_e32 v[130:131], s[0:1], v[146:147]
	s_delay_alu instid0(VALU_DEP_3) | instskip(SKIP_1) | instid1(VALU_DEP_4)
	v_add_f64_e32 v[16:17], v[16:17], v[14:15]
	v_fma_f64 v[14:15], v[168:169], s[56:57], v[140:141]
	v_add_f64_e32 v[134:135], v[134:135], v[6:7]
	v_fma_f64 v[6:7], v[168:169], s[22:23], v[140:141]
	v_mul_f64_e32 v[140:141], s[44:45], v[164:165]
	v_mul_f64_e32 v[164:165], s[8:9], v[164:165]
	v_add_f64_e32 v[14:15], v[14:15], v[12:13]
	v_add_f64_e32 v[12:13], v[32:33], v[16:17]
	v_fma_f64 v[16:17], v[84:85], s[18:19], v[40:41]
	v_fma_f64 v[32:33], v[96:97], s[56:57], v[50:51]
	v_add_f64_e32 v[6:7], v[6:7], v[4:5]
	v_fma_f64 v[4:5], v[142:143], s[20:21], v[144:145]
	v_mul_f64_e32 v[144:145], s[10:11], v[148:149]
	v_fma_f64 v[40:41], v[84:85], s[46:47], v[40:41]
	v_add_f64_e32 v[16:17], v[16:17], v[18:19]
	v_fma_f64 v[18:19], v[72:73], s[16:17], v[42:43]
	v_fma_f64 v[42:43], v[72:73], s[16:17], -v[42:43]
	v_add_f64_e32 v[4:5], v[4:5], v[134:135]
	v_mul_f64_e32 v[134:135], s[34:35], v[138:139]
	v_add_f64_e32 v[40:41], v[40:41], v[60:61]
	v_add_f64_e32 v[16:17], v[32:33], v[16:17]
	;; [unrolled: 1-line block ×3, first 2 shown]
	v_mul_f64_e32 v[52:53], s[22:23], v[98:99]
	v_add_f64_e32 v[42:43], v[42:43], v[44:45]
	v_fma_f64 v[44:45], v[96:97], s[22:23], v[50:51]
	v_fma_f64 v[50:51], v[142:143], s[24:25], -v[166:167]
	s_delay_alu instid0(VALU_DEP_4) | instskip(NEXT) | instid1(VALU_DEP_3)
	v_fma_f64 v[32:33], v[76:77], s[20:21], v[52:53]
	v_add_f64_e32 v[40:41], v[44:45], v[40:41]
	v_fma_f64 v[44:45], v[76:77], s[20:21], -v[52:53]
	v_fma_f64 v[52:53], v[142:143], s[16:17], v[172:173]
	s_delay_alu instid0(VALU_DEP_4) | instskip(SKIP_1) | instid1(VALU_DEP_4)
	v_add_f64_e32 v[18:19], v[32:33], v[18:19]
	v_fma_f64 v[32:33], v[120:121], s[42:43], v[102:103]
	v_add_f64_e32 v[42:43], v[44:45], v[42:43]
	v_fma_f64 v[44:45], v[120:121], s[54:55], v[102:103]
	s_delay_alu instid0(VALU_DEP_3) | instskip(SKIP_1) | instid1(VALU_DEP_3)
	v_add_f64_e32 v[16:17], v[32:33], v[16:17]
	v_fma_f64 v[32:33], v[88:89], s[28:29], v[106:107]
	v_add_f64_e32 v[40:41], v[44:45], v[40:41]
	v_fma_f64 v[44:45], v[88:89], s[28:29], -v[106:107]
	s_delay_alu instid0(VALU_DEP_3) | instskip(SKIP_1) | instid1(VALU_DEP_3)
	v_add_f64_e32 v[18:19], v[32:33], v[18:19]
	v_fma_f64 v[32:33], v[136:137], s[48:49], v[126:127]
	v_add_f64_e32 v[42:43], v[44:45], v[42:43]
	v_fma_f64 v[44:45], v[136:137], s[0:1], v[126:127]
	s_delay_alu instid0(VALU_DEP_3) | instskip(SKIP_1) | instid1(VALU_DEP_3)
	v_add_f64_e32 v[16:17], v[32:33], v[16:17]
	v_fma_f64 v[32:33], v[104:105], s[6:7], v[130:131]
	v_add_f64_e32 v[40:41], v[44:45], v[40:41]
	v_fma_f64 v[44:45], v[104:105], s[6:7], -v[130:131]
	s_delay_alu instid0(VALU_DEP_3) | instskip(SKIP_1) | instid1(VALU_DEP_3)
	v_add_f64_e32 v[18:19], v[32:33], v[18:19]
	v_fma_f64 v[32:33], v[152:153], s[50:51], v[134:135]
	v_add_f64_e32 v[42:43], v[44:45], v[42:43]
	v_fma_f64 v[44:45], v[152:153], s[44:45], v[134:135]
	s_delay_alu instid0(VALU_DEP_3) | instskip(SKIP_1) | instid1(VALU_DEP_3)
	v_add_f64_e32 v[16:17], v[32:33], v[16:17]
	v_fma_f64 v[32:33], v[124:125], s[34:35], v[140:141]
	v_add_f64_e32 v[40:41], v[44:45], v[40:41]
	v_fma_f64 v[44:45], v[124:125], s[34:35], -v[140:141]
	s_delay_alu instid0(VALU_DEP_3) | instskip(SKIP_1) | instid1(VALU_DEP_3)
	v_add_f64_e32 v[18:19], v[32:33], v[18:19]
	v_fma_f64 v[32:33], v[158:159], s[8:9], v[144:145]
	v_add_f64_e32 v[42:43], v[44:45], v[42:43]
	v_fma_f64 v[44:45], v[158:159], s[52:53], v[144:145]
	s_delay_alu instid0(VALU_DEP_3) | instskip(SKIP_1) | instid1(VALU_DEP_3)
	v_add_f64_e32 v[16:17], v[32:33], v[16:17]
	v_fma_f64 v[32:33], v[132:133], s[10:11], v[160:161]
	v_add_f64_e32 v[40:41], v[44:45], v[40:41]
	v_fma_f64 v[44:45], v[132:133], s[10:11], -v[160:161]
	s_delay_alu instid0(VALU_DEP_3) | instskip(SKIP_1) | instid1(VALU_DEP_3)
	v_add_f64_e32 v[32:33], v[32:33], v[18:19]
	v_fma_f64 v[18:19], v[168:169], s[36:37], v[162:163]
	v_add_f64_e32 v[44:45], v[44:45], v[42:43]
	v_fma_f64 v[42:43], v[168:169], s[26:27], v[162:163]
	s_delay_alu instid0(VALU_DEP_3) | instskip(SKIP_1) | instid1(VALU_DEP_3)
	v_add_f64_e32 v[18:19], v[18:19], v[16:17]
	v_fma_f64 v[16:17], v[142:143], s[24:25], v[166:167]
	v_add_f64_e32 v[42:43], v[42:43], v[40:41]
	v_add_f64_e32 v[40:41], v[50:51], v[44:45]
	v_fma_f64 v[44:45], v[84:85], s[26:27], v[188:189]
	s_delay_alu instid0(VALU_DEP_4) | instskip(SKIP_1) | instid1(VALU_DEP_3)
	v_add_f64_e32 v[16:17], v[16:17], v[32:33]
	v_mul_f64_e32 v[32:33], s[24:25], v[138:139]
	v_add_f64_e32 v[44:45], v[44:45], v[62:63]
	s_delay_alu instid0(VALU_DEP_2) | instskip(NEXT) | instid1(VALU_DEP_1)
	v_add_f64_e32 v[32:33], v[233:234], v[32:33]
	v_add_f64_e32 v[20:21], v[32:33], v[20:21]
	v_mul_f64_e32 v[32:33], s[6:7], v[142:143]
	s_delay_alu instid0(VALU_DEP_2) | instskip(NEXT) | instid1(VALU_DEP_2)
	v_add_f64_e32 v[20:21], v[38:39], v[20:21]
	v_add_f64_e64 v[32:33], v[32:33], -v[195:196]
	v_mul_f64_e32 v[38:39], s[34:35], v[92:93]
	s_delay_alu instid0(VALU_DEP_3) | instskip(NEXT) | instid1(VALU_DEP_3)
	v_add_f64_e32 v[22:23], v[34:35], v[20:21]
	v_add_f64_e32 v[20:21], v[32:33], v[36:37]
	v_mul_f64_e32 v[32:33], s[6:7], v[138:139]
	v_mul_f64_e32 v[36:37], s[24:25], v[100:101]
	v_add_f64_e32 v[38:39], v[219:220], v[38:39]
	v_mul_f64_e32 v[34:35], s[10:11], v[128:129]
	s_delay_alu instid0(VALU_DEP_4) | instskip(SKIP_2) | instid1(VALU_DEP_4)
	v_add_f64_e32 v[32:33], v[78:79], v[32:33]
	v_mul_f64_e32 v[78:79], s[28:29], v[80:81]
	v_add_f64_e32 v[36:37], v[235:236], v[36:37]
	v_add_f64_e32 v[34:35], v[249:250], v[34:35]
	s_delay_alu instid0(VALU_DEP_3) | instskip(NEXT) | instid1(VALU_DEP_1)
	v_add_f64_e32 v[78:79], v[207:208], v[78:79]
	v_add_f64_e32 v[24:25], v[78:79], v[24:25]
	v_mul_f64_e32 v[78:79], s[24:25], v[88:89]
	s_delay_alu instid0(VALU_DEP_2) | instskip(NEXT) | instid1(VALU_DEP_2)
	v_add_f64_e32 v[24:25], v[38:39], v[24:25]
	v_add_f64_e64 v[78:79], v[78:79], -v[203:204]
	v_mul_f64_e32 v[38:39], s[20:21], v[148:149]
	s_delay_alu instid0(VALU_DEP_3) | instskip(NEXT) | instid1(VALU_DEP_3)
	v_add_f64_e32 v[24:25], v[36:37], v[24:25]
	v_add_f64_e32 v[26:27], v[78:79], v[26:27]
	s_delay_alu instid0(VALU_DEP_3)
	v_add_f64_e32 v[38:39], v[237:238], v[38:39]
	v_mul_f64_e32 v[36:37], s[20:21], v[132:133]
	v_mul_f64_e32 v[78:79], s[24:25], v[92:93]
	v_add_f64_e32 v[24:25], v[34:35], v[24:25]
	v_add_f64_e32 v[26:27], v[176:177], v[26:27]
	v_mul_f64_e32 v[34:35], s[30:31], v[154:155]
	v_add_f64_e64 v[36:37], v[36:37], -v[223:224]
	v_add_f64_e32 v[78:79], v[241:242], v[78:79]
	v_mul_f64_e32 v[176:177], s[20:21], v[138:139]
	v_add_f64_e32 v[24:25], v[32:33], v[24:25]
	v_add_f64_e32 v[26:27], v[174:175], v[26:27]
	;; [unrolled: 1-line block ×3, first 2 shown]
	v_mul_f64_e32 v[32:33], s[30:31], v[142:143]
	v_mul_f64_e32 v[174:175], s[44:45], v[146:147]
	;; [unrolled: 1-line block ×3, first 2 shown]
	v_add_f64_e32 v[24:25], v[38:39], v[24:25]
	v_add_f64_e32 v[36:37], v[36:37], v[26:27]
	v_mul_f64_e32 v[38:39], s[6:7], v[100:101]
	v_add_f64_e64 v[32:33], v[32:33], -v[217:218]
	s_delay_alu instid0(VALU_DEP_4) | instskip(SKIP_1) | instid1(VALU_DEP_4)
	v_add_f64_e32 v[26:27], v[34:35], v[24:25]
	v_mul_f64_e32 v[34:35], s[30:31], v[138:139]
	v_add_f64_e32 v[38:39], v[251:252], v[38:39]
	s_delay_alu instid0(VALU_DEP_4) | instskip(SKIP_4) | instid1(VALU_DEP_4)
	v_add_f64_e32 v[24:25], v[32:33], v[36:37]
	v_mul_f64_e32 v[36:37], s[16:17], v[128:129]
	v_mul_f64_e32 v[32:33], s[28:29], v[148:149]
	v_add_f64_e32 v[34:35], v[90:91], v[34:35]
	v_mul_f64_e32 v[90:91], s[30:31], v[124:125]
	v_add_f64_e32 v[36:37], v[82:83], v[36:37]
	;; [unrolled: 2-line block ×3, first 2 shown]
	v_mul_f64_e32 v[94:95], s[24:25], v[76:77]
	v_add_f64_e64 v[74:75], v[90:91], -v[74:75]
	v_mul_f64_e32 v[90:91], s[34:35], v[72:73]
	v_add_f64_e32 v[82:83], v[227:228], v[82:83]
	s_delay_alu instid0(VALU_DEP_4) | instskip(NEXT) | instid1(VALU_DEP_3)
	v_add_f64_e64 v[94:95], v[94:95], -v[221:222]
	v_add_f64_e64 v[90:91], v[90:91], -v[209:210]
	s_delay_alu instid0(VALU_DEP_3) | instskip(SKIP_1) | instid1(VALU_DEP_3)
	v_add_f64_e32 v[28:29], v[82:83], v[28:29]
	v_mul_f64_e32 v[82:83], s[6:7], v[88:89]
	v_add_f64_e32 v[30:31], v[90:91], v[30:31]
	v_mul_f64_e32 v[90:91], s[18:19], v[122:123]
	s_delay_alu instid0(VALU_DEP_4) | instskip(NEXT) | instid1(VALU_DEP_4)
	v_add_f64_e32 v[28:29], v[78:79], v[28:29]
	v_add_f64_e64 v[82:83], v[82:83], -v[225:226]
	v_mul_f64_e32 v[78:79], s[16:17], v[104:105]
	v_mul_f64_e32 v[122:123], s[38:39], v[122:123]
	v_add_f64_e32 v[30:31], v[94:95], v[30:31]
	v_mul_f64_e32 v[94:95], s[34:35], v[128:129]
	v_add_f64_e32 v[28:29], v[38:39], v[28:29]
	v_mul_f64_e32 v[38:39], s[28:29], v[132:133]
	v_add_f64_e64 v[78:79], v[78:79], -v[229:230]
	v_add_f64_e32 v[30:31], v[82:83], v[30:31]
	v_mul_f64_e32 v[82:83], s[16:17], v[100:101]
	v_add_f64_e32 v[28:29], v[36:37], v[28:29]
	v_add_f64_e64 v[38:39], v[38:39], -v[247:248]
	v_mul_f64_e32 v[36:37], s[10:11], v[154:155]
	v_fma_f64 v[60:61], v[136:137], s[50:51], v[94:95]
	v_add_f64_e32 v[30:31], v[78:79], v[30:31]
	v_mul_f64_e32 v[78:79], s[52:53], v[98:99]
	v_add_f64_e32 v[28:29], v[34:35], v[28:29]
	v_mul_f64_e32 v[34:35], s[10:11], v[142:143]
	v_add_f64_e32 v[36:37], v[253:254], v[36:37]
	v_fma_f64 v[62:63], v[120:121], s[46:47], v[82:83]
	v_add_f64_e32 v[30:31], v[74:75], v[30:31]
	v_mul_f64_e32 v[74:75], s[30:31], v[80:81]
	v_add_f64_e32 v[28:29], v[32:33], v[28:29]
	v_add_f64_e64 v[34:35], v[34:35], -v[243:244]
	s_delay_alu instid0(VALU_DEP_4) | instskip(NEXT) | instid1(VALU_DEP_3)
	v_add_f64_e32 v[32:33], v[38:39], v[30:31]
	v_add_f64_e32 v[30:31], v[36:37], v[28:29]
	s_delay_alu instid0(VALU_DEP_2) | instskip(SKIP_1) | instid1(VALU_DEP_1)
	v_add_f64_e32 v[28:29], v[34:35], v[32:33]
	v_fma_f64 v[32:33], v[84:85], s[40:41], v[74:75]
	v_add_f64_e32 v[32:33], v[32:33], v[68:69]
	v_mul_f64_e32 v[68:69], s[40:41], v[86:87]
	s_delay_alu instid0(VALU_DEP_1) | instskip(NEXT) | instid1(VALU_DEP_1)
	v_fma_f64 v[34:35], v[72:73], s[30:31], -v[68:69]
	v_add_f64_e32 v[34:35], v[34:35], v[48:49]
	v_mul_f64_e32 v[48:49], s[10:11], v[92:93]
	s_delay_alu instid0(VALU_DEP_1) | instskip(SKIP_1) | instid1(VALU_DEP_2)
	v_fma_f64 v[36:37], v[96:97], s[52:53], v[48:49]
	v_fma_f64 v[48:49], v[96:97], s[8:9], v[48:49]
	v_add_f64_e32 v[32:33], v[36:37], v[32:33]
	v_fma_f64 v[36:37], v[76:77], s[10:11], -v[78:79]
	s_delay_alu instid0(VALU_DEP_1) | instskip(SKIP_1) | instid1(VALU_DEP_1)
	v_add_f64_e32 v[34:35], v[36:37], v[34:35]
	v_fma_f64 v[36:37], v[120:121], s[18:19], v[82:83]
	v_add_f64_e32 v[32:33], v[36:37], v[32:33]
	v_fma_f64 v[36:37], v[88:89], s[16:17], -v[90:91]
	s_delay_alu instid0(VALU_DEP_1) | instskip(SKIP_1) | instid1(VALU_DEP_1)
	v_add_f64_e32 v[34:35], v[36:37], v[34:35]
	;; [unrolled: 5-line block ×6, first 2 shown]
	v_fma_f64 v[36:37], v[84:85], s[36:37], v[188:189]
	v_add_f64_e32 v[36:37], v[36:37], v[64:65]
	v_mul_f64_e32 v[64:65], s[36:37], v[86:87]
	s_delay_alu instid0(VALU_DEP_1) | instskip(SKIP_2) | instid1(VALU_DEP_3)
	v_fma_f64 v[38:39], v[72:73], s[24:25], -v[64:65]
	v_fma_f64 v[50:51], v[72:73], s[24:25], v[64:65]
	v_fma_f64 v[64:65], v[168:169], s[54:55], v[184:185]
	v_add_f64_e32 v[38:39], v[38:39], v[46:47]
	v_mul_f64_e32 v[46:47], s[6:7], v[92:93]
	s_delay_alu instid0(VALU_DEP_4) | instskip(SKIP_1) | instid1(VALU_DEP_3)
	v_add_f64_e32 v[50:51], v[50:51], v[54:55]
	v_fma_f64 v[54:55], v[152:153], s[22:23], v[176:177]
	v_fma_f64 v[86:87], v[96:97], s[0:1], v[46:47]
	v_fma_f64 v[46:47], v[96:97], s[48:49], v[46:47]
	s_delay_alu instid0(VALU_DEP_2) | instskip(SKIP_1) | instid1(VALU_DEP_3)
	v_add_f64_e32 v[36:37], v[86:87], v[36:37]
	v_mul_f64_e32 v[86:87], s[0:1], v[98:99]
	v_add_f64_e32 v[44:45], v[46:47], v[44:45]
	s_delay_alu instid0(VALU_DEP_2) | instskip(SKIP_1) | instid1(VALU_DEP_2)
	v_fma_f64 v[98:99], v[76:77], s[6:7], -v[86:87]
	v_fma_f64 v[46:47], v[76:77], s[6:7], v[86:87]
	v_add_f64_e32 v[38:39], v[98:99], v[38:39]
	v_mul_f64_e32 v[98:99], s[30:31], v[100:101]
	s_delay_alu instid0(VALU_DEP_3) | instskip(NEXT) | instid1(VALU_DEP_2)
	v_add_f64_e32 v[46:47], v[46:47], v[50:51]
	v_fma_f64 v[190:191], v[120:121], s[38:39], v[98:99]
	v_fma_f64 v[50:51], v[120:121], s[40:41], v[98:99]
	s_delay_alu instid0(VALU_DEP_2) | instskip(SKIP_1) | instid1(VALU_DEP_3)
	v_add_f64_e32 v[36:37], v[190:191], v[36:37]
	v_fma_f64 v[190:191], v[88:89], s[30:31], -v[122:123]
	v_add_f64_e32 v[44:45], v[50:51], v[44:45]
	v_fma_f64 v[50:51], v[88:89], s[30:31], v[122:123]
	s_delay_alu instid0(VALU_DEP_3) | instskip(SKIP_1) | instid1(VALU_DEP_3)
	v_add_f64_e32 v[38:39], v[190:191], v[38:39]
	v_mul_f64_e32 v[190:191], s[20:21], v[128:129]
	v_add_f64_e32 v[46:47], v[50:51], v[46:47]
	s_delay_alu instid0(VALU_DEP_2) | instskip(SKIP_1) | instid1(VALU_DEP_2)
	v_fma_f64 v[192:193], v[136:137], s[56:57], v[190:191]
	v_fma_f64 v[50:51], v[136:137], s[22:23], v[190:191]
	v_add_f64_e32 v[36:37], v[192:193], v[36:37]
	v_fma_f64 v[192:193], v[104:105], s[20:21], -v[146:147]
	s_delay_alu instid0(VALU_DEP_3) | instskip(SKIP_1) | instid1(VALU_DEP_3)
	v_add_f64_e32 v[44:45], v[50:51], v[44:45]
	v_fma_f64 v[50:51], v[104:105], s[20:21], v[146:147]
	v_add_f64_e32 v[38:39], v[192:193], v[38:39]
	v_mul_f64_e32 v[192:193], s[10:11], v[138:139]
	s_delay_alu instid0(VALU_DEP_3) | instskip(NEXT) | instid1(VALU_DEP_2)
	v_add_f64_e32 v[46:47], v[50:51], v[46:47]
	v_fma_f64 v[194:195], v[152:153], s[8:9], v[192:193]
	v_fma_f64 v[50:51], v[152:153], s[52:53], v[192:193]
	s_delay_alu instid0(VALU_DEP_2) | instskip(SKIP_1) | instid1(VALU_DEP_3)
	v_add_f64_e32 v[36:37], v[194:195], v[36:37]
	v_fma_f64 v[194:195], v[124:125], s[10:11], -v[164:165]
	v_add_f64_e32 v[44:45], v[50:51], v[44:45]
	v_fma_f64 v[50:51], v[124:125], s[10:11], v[164:165]
	s_delay_alu instid0(VALU_DEP_3) | instskip(SKIP_1) | instid1(VALU_DEP_3)
	v_add_f64_e32 v[38:39], v[194:195], v[38:39]
	v_mul_f64_e32 v[194:195], s[34:35], v[148:149]
	v_add_f64_e32 v[46:47], v[50:51], v[46:47]
	s_delay_alu instid0(VALU_DEP_2) | instskip(SKIP_1) | instid1(VALU_DEP_2)
	v_fma_f64 v[50:51], v[158:159], s[50:51], v[194:195]
	v_fma_f64 v[196:197], v[158:159], s[44:45], v[194:195]
	v_add_f64_e32 v[44:45], v[50:51], v[44:45]
	v_fma_f64 v[50:51], v[132:133], s[34:35], v[170:171]
	s_delay_alu instid0(VALU_DEP_3) | instskip(SKIP_1) | instid1(VALU_DEP_3)
	v_add_f64_e32 v[36:37], v[196:197], v[36:37]
	v_fma_f64 v[196:197], v[132:133], s[34:35], -v[170:171]
	v_add_f64_e32 v[50:51], v[50:51], v[46:47]
	v_fma_f64 v[46:47], v[168:169], s[18:19], v[198:199]
	s_delay_alu instid0(VALU_DEP_3) | instskip(SKIP_1) | instid1(VALU_DEP_3)
	v_add_f64_e32 v[196:197], v[196:197], v[38:39]
	v_fma_f64 v[38:39], v[168:169], s[46:47], v[198:199]
	v_add_f64_e32 v[46:47], v[46:47], v[44:45]
	v_add_f64_e32 v[44:45], v[52:53], v[50:51]
	v_fma_f64 v[50:51], v[84:85], s[38:39], v[74:75]
	v_fma_f64 v[52:53], v[158:159], s[48:49], v[180:181]
	v_add_f64_e32 v[38:39], v[38:39], v[36:37]
	v_fma_f64 v[36:37], v[142:143], s[16:17], -v[172:173]
	s_delay_alu instid0(VALU_DEP_4)
	v_add_f64_e32 v[50:51], v[50:51], v[66:67]
	v_fma_f64 v[66:67], v[72:73], s[30:31], v[68:69]
	v_mul_f64_e32 v[68:69], s[10:11], v[72:73]
	v_mul_f64_e32 v[72:73], s[16:17], v[76:77]
	v_add_f64_e32 v[36:37], v[36:37], v[196:197]
	v_add_f64_e32 v[48:49], v[48:49], v[50:51]
	;; [unrolled: 1-line block ×3, first 2 shown]
	v_fma_f64 v[50:51], v[76:77], s[10:11], v[78:79]
	v_mul_f64_e32 v[66:67], s[24:25], v[104:105]
	s_delay_alu instid0(VALU_DEP_4) | instskip(SKIP_1) | instid1(VALU_DEP_4)
	v_add_f64_e32 v[48:49], v[62:63], v[48:49]
	v_mul_f64_e32 v[62:63], s[10:11], v[80:81]
	v_add_f64_e32 v[50:51], v[50:51], v[56:57]
	v_fma_f64 v[56:57], v[88:89], s[16:17], v[90:91]
	s_delay_alu instid0(VALU_DEP_4) | instskip(SKIP_1) | instid1(VALU_DEP_3)
	v_add_f64_e32 v[48:49], v[60:61], v[48:49]
	v_mul_f64_e32 v[60:61], s[16:17], v[92:93]
	v_add_f64_e32 v[50:51], v[56:57], v[50:51]
	v_fma_f64 v[56:57], v[104:105], s[34:35], v[174:175]
	s_delay_alu instid0(VALU_DEP_4) | instskip(SKIP_1) | instid1(VALU_DEP_3)
	v_add_f64_e32 v[48:49], v[54:55], v[48:49]
	v_fma_f64 v[54:55], v[124:125], s[20:21], v[178:179]
	v_add_f64_e32 v[50:51], v[56:57], v[50:51]
	v_mul_f64_e32 v[56:57], s[20:21], v[100:101]
	s_delay_alu instid0(VALU_DEP_4) | instskip(SKIP_1) | instid1(VALU_DEP_4)
	v_add_f64_e32 v[48:49], v[52:53], v[48:49]
	v_fma_f64 v[52:53], v[132:133], s[6:7], v[182:183]
	v_add_f64_e32 v[50:51], v[54:55], v[50:51]
	v_fma_f64 v[54:55], v[142:143], s[28:29], v[186:187]
	s_delay_alu instid0(VALU_DEP_2) | instskip(SKIP_2) | instid1(VALU_DEP_3)
	v_add_f64_e32 v[52:53], v[52:53], v[50:51]
	v_add_f64_e32 v[50:51], v[64:65], v[48:49]
	v_mul_f64_e32 v[64:65], s[28:29], v[124:125]
	v_add_f64_e32 v[48:49], v[54:55], v[52:53]
	v_mul_f64_e32 v[52:53], s[28:29], v[138:139]
	v_mul_f64_e32 v[54:55], s[24:25], v[128:129]
	s_wait_loadcnt 0x0
	s_delay_alu instid0(VALU_DEP_2)
	v_add_f64_e32 v[52:53], v[0:1], v[52:53]
	scratch_load_b64 v[0:1], off, off offset:156 th:TH_LOAD_LU ; 8-byte Folded Reload
	s_wait_loadcnt 0x0
	v_add_f64_e32 v[54:55], v[0:1], v[54:55]
	scratch_load_b64 v[0:1], off, off offset:108 th:TH_LOAD_LU ; 8-byte Folded Reload
	s_wait_loadcnt 0x0
	;; [unrolled: 3-line block ×4, first 2 shown]
	v_add_f64_e32 v[62:63], v[0:1], v[62:63]
	scratch_load_b64 v[0:1], off, off offset:140 th:TH_LOAD_LU ; 8-byte Folded Reload
	v_add_f64_e32 v[62:63], v[62:63], v[70:71]
	s_delay_alu instid0(VALU_DEP_1) | instskip(SKIP_1) | instid1(VALU_DEP_2)
	v_add_f64_e32 v[60:61], v[60:61], v[62:63]
	v_mul_f64_e32 v[62:63], s[30:31], v[148:149]
	v_add_f64_e32 v[56:57], v[56:57], v[60:61]
	v_mul_f64_e32 v[60:61], s[30:31], v[132:133]
	s_delay_alu instid0(VALU_DEP_3) | instskip(NEXT) | instid1(VALU_DEP_3)
	v_add_f64_e32 v[62:63], v[150:151], v[62:63]
	v_add_f64_e32 v[54:55], v[54:55], v[56:57]
	s_delay_alu instid0(VALU_DEP_1) | instskip(NEXT) | instid1(VALU_DEP_1)
	v_add_f64_e32 v[52:53], v[52:53], v[54:55]
	v_add_f64_e32 v[52:53], v[62:63], v[52:53]
	s_wait_loadcnt 0x0
	v_add_f64_e64 v[64:65], v[64:65], -v[0:1]
	scratch_load_b64 v[0:1], off, off offset:124 th:TH_LOAD_LU ; 8-byte Folded Reload
	s_wait_loadcnt 0x0
	v_add_f64_e64 v[66:67], v[66:67], -v[0:1]
	scratch_load_b64 v[0:1], off, off offset:28 th:TH_LOAD_LU ; 8-byte Folded Reload
	;; [unrolled: 3-line block ×3, first 2 shown]
	v_add_f64_e32 v[58:59], v[68:69], v[58:59]
	v_mul_f64_e32 v[68:69], s[20:21], v[88:89]
	s_wait_loadcnt 0x0
	v_add_f64_e64 v[72:73], v[72:73], -v[0:1]
	scratch_load_b64 v[0:1], off, off offset:76 th:TH_LOAD_LU ; 8-byte Folded Reload
	v_add_f64_e32 v[58:59], v[72:73], v[58:59]
	s_wait_loadcnt 0x0
	v_add_f64_e64 v[68:69], v[68:69], -v[0:1]
	scratch_load_b64 v[0:1], off, off offset:172 th:TH_LOAD_LU ; 8-byte Folded Reload
	v_add_f64_e32 v[58:59], v[68:69], v[58:59]
	s_delay_alu instid0(VALU_DEP_1) | instskip(SKIP_1) | instid1(VALU_DEP_2)
	v_add_f64_e32 v[56:57], v[66:67], v[58:59]
	v_mul_f64_e32 v[58:59], s[34:35], v[154:155]
	v_add_f64_e32 v[54:55], v[64:65], v[56:57]
	v_mul_f64_e32 v[56:57], s[34:35], v[142:143]
	s_delay_alu instid0(VALU_DEP_3)
	v_add_f64_e32 v[58:59], v[156:157], v[58:59]
	s_wait_loadcnt 0x0
	v_add_f64_e64 v[60:61], v[60:61], -v[0:1]
	scratch_load_b64 v[0:1], off, off offset:204 th:TH_LOAD_LU ; 8-byte Folded Reload
	v_add_f64_e32 v[60:61], v[60:61], v[54:55]
	v_add_f64_e32 v[54:55], v[58:59], v[52:53]
	s_wait_loadcnt 0x0
	v_add_f64_e64 v[56:57], v[56:57], -v[0:1]
	scratch_load_b32 v0, off, off           ; 4-byte Folded Reload
	v_add_f64_e32 v[52:53], v[56:57], v[60:61]
	s_wait_loadcnt 0x0
	v_mul_lo_u16 v0, v0, 17
	s_delay_alu instid0(VALU_DEP_1) | instskip(NEXT) | instid1(VALU_DEP_1)
	v_and_b32_e32 v0, 0xffff, v0
	v_lshlrev_b32_e32 v0, 4, v0
	ds_store_b128 v0, v[20:23] offset:32
	ds_store_b128 v0, v[24:27] offset:48
	;; [unrolled: 1-line block ×15, first 2 shown]
	ds_store_b128 v0, v[8:11]
	scratch_load_b128 v[1:4], off, off offset:12 ; 16-byte Folded Reload
	s_wait_loadcnt 0x0
	ds_store_b128 v0, v[1:4] offset:256
.LBB0_7:
	s_or_b32 exec_lo, exec_lo, s33
	scratch_load_b32 v254, off, off         ; 4-byte Folded Reload
	s_load_b128 s[4:7], s[4:5], 0x0
	s_mov_b32 s28, 0x42a4c3d2
	s_mov_b32 s26, 0x66966769
	;; [unrolled: 1-line block ×25, first 2 shown]
	s_wait_alu 0xfffe
	s_mov_b32 s36, s22
	s_mov_b32 s39, 0x3fefc445
	;; [unrolled: 1-line block ×5, first 2 shown]
	s_wait_loadcnt 0x0
	v_and_b32_e32 v0, 0xff, v254
	s_delay_alu instid0(VALU_DEP_1) | instskip(NEXT) | instid1(VALU_DEP_1)
	v_mul_lo_u16 v0, 0xf1, v0
	v_lshrrev_b16 v0, 12, v0
	scratch_store_b32 off, v0, off offset:28 ; 4-byte Folded Spill
	v_mul_lo_u16 v0, v0, 17
	s_delay_alu instid0(VALU_DEP_1) | instskip(NEXT) | instid1(VALU_DEP_1)
	v_sub_nc_u16 v0, v254, v0
	v_and_b32_e32 v0, 0xff, v0
	scratch_store_b32 off, v0, off offset:44 ; 4-byte Folded Spill
	v_mul_u32_u24_e32 v0, 12, v0
	global_wb scope:SCOPE_SE
	s_wait_storecnt_dscnt 0x0
	s_wait_kmcnt 0x0
	s_barrier_signal -1
	s_barrier_wait -1
	global_inv scope:SCOPE_SE
	v_lshlrev_b32_e32 v60, 4, v0
	s_clause 0x3
	global_load_b128 v[0:3], v60, s[2:3]
	global_load_b128 v[4:7], v60, s[2:3] offset:176
	global_load_b128 v[12:15], v60, s[2:3] offset:16
	;; [unrolled: 1-line block ×3, first 2 shown]
	ds_load_b128 v[24:27], v255 offset:2176
	ds_load_b128 v[20:23], v255 offset:26112
	ds_load_b128 v[138:141], v255
	ds_load_b128 v[36:39], v255 offset:6528
	s_wait_loadcnt_dscnt 0x303
	v_mul_f64_e32 v[28:29], v[26:27], v[2:3]
	v_mul_f64_e32 v[30:31], v[24:25], v[2:3]
	s_wait_loadcnt_dscnt 0x202
	v_mul_f64_e32 v[32:33], v[20:21], v[6:7]
	v_mul_f64_e32 v[34:35], v[22:23], v[6:7]
	s_clause 0x1
	scratch_store_b128 off, v[0:3], off offset:76
	scratch_store_b128 off, v[4:7], off offset:92
	s_wait_loadcnt 0x1
	scratch_store_b128 off, v[12:15], off offset:124 ; 16-byte Folded Spill
	v_fma_f64 v[98:99], v[24:25], v[0:1], -v[28:29]
	v_fma_f64 v[100:101], v[26:27], v[0:1], v[30:31]
	ds_load_b128 v[24:27], v255 offset:4352
	v_fma_f64 v[22:23], v[22:23], v[4:5], v[32:33]
	v_fma_f64 v[20:21], v[20:21], v[4:5], -v[34:35]
	ds_load_b128 v[32:35], v255 offset:23936
	ds_load_b128 v[40:43], v255 offset:21760
	s_wait_loadcnt 0x0
	scratch_store_b128 off, v[8:11], off offset:108 ; 16-byte Folded Spill
	s_clause 0x1
	global_load_b128 v[4:7], v60, s[2:3] offset:32
	global_load_b128 v[0:3], v60, s[2:3] offset:48
	s_wait_dscnt 0x2
	v_mul_f64_e32 v[28:29], v[26:27], v[14:15]
	v_add_f64_e32 v[152:153], v[100:101], v[22:23]
	v_add_f64_e32 v[124:125], v[98:99], v[20:21]
	s_delay_alu instid0(VALU_DEP_3) | instskip(SKIP_1) | instid1(VALU_DEP_1)
	v_fma_f64 v[28:29], v[24:25], v[12:13], -v[28:29]
	v_mul_f64_e32 v[24:25], v[24:25], v[14:15]
	v_fma_f64 v[30:31], v[26:27], v[12:13], v[24:25]
	s_wait_dscnt 0x1
	v_mul_f64_e32 v[24:25], v[32:33], v[10:11]
	v_mul_f64_e32 v[26:27], v[34:35], v[10:11]
	s_delay_alu instid0(VALU_DEP_2) | instskip(NEXT) | instid1(VALU_DEP_2)
	v_fma_f64 v[24:25], v[34:35], v[8:9], v[24:25]
	v_fma_f64 v[26:27], v[32:33], v[8:9], -v[26:27]
	s_wait_loadcnt 0x1
	v_mul_f64_e32 v[48:49], v[38:39], v[6:7]
	scratch_store_b128 off, v[4:7], off offset:188 ; 16-byte Folded Spill
	v_fma_f64 v[68:69], v[36:37], v[4:5], -v[48:49]
	v_mul_f64_e32 v[36:37], v[36:37], v[6:7]
	s_delay_alu instid0(VALU_DEP_1)
	v_fma_f64 v[70:71], v[38:39], v[4:5], v[36:37]
	s_clause 0x1
	global_load_b128 v[8:11], v60, s[2:3] offset:144
	global_load_b128 v[4:7], v60, s[2:3] offset:128
	s_wait_loadcnt_dscnt 0x100
	v_mul_f64_e32 v[48:49], v[40:41], v[10:11]
	scratch_store_b128 off, v[8:11], off offset:220 ; 16-byte Folded Spill
	v_fma_f64 v[64:65], v[42:43], v[8:9], v[48:49]
	v_mul_f64_e32 v[42:43], v[42:43], v[10:11]
	s_delay_alu instid0(VALU_DEP_1)
	v_fma_f64 v[66:67], v[40:41], v[8:9], -v[42:43]
	ds_load_b128 v[40:43], v255 offset:8704
	ds_load_b128 v[48:51], v255 offset:10880
	scratch_store_b128 off, v[0:3], off offset:140 ; 16-byte Folded Spill
	s_wait_dscnt 0x1
	v_mul_f64_e32 v[56:57], v[40:41], v[2:3]
	v_add_f64_e64 v[190:191], v[68:69], -v[66:67]
	s_delay_alu instid0(VALU_DEP_2) | instskip(SKIP_1) | instid1(VALU_DEP_3)
	v_fma_f64 v[76:77], v[42:43], v[0:1], v[56:57]
	v_mul_f64_e32 v[42:43], v[42:43], v[2:3]
	v_mul_f64_e32 v[192:193], s[20:21], v[190:191]
	s_wait_alu 0xfffe
	v_mul_f64_e32 v[232:233], s[40:41], v[190:191]
	s_delay_alu instid0(VALU_DEP_3)
	v_fma_f64 v[78:79], v[40:41], v[0:1], -v[42:43]
	ds_load_b128 v[40:43], v255 offset:19584
	ds_load_b128 v[94:97], v255 offset:17408
	s_wait_loadcnt 0x0
	scratch_store_b128 off, v[4:7], off offset:156 ; 16-byte Folded Spill
	s_wait_dscnt 0x1
	v_mul_f64_e32 v[56:57], v[40:41], v[6:7]
	s_delay_alu instid0(VALU_DEP_1) | instskip(SKIP_1) | instid1(VALU_DEP_2)
	v_fma_f64 v[72:73], v[42:43], v[4:5], v[56:57]
	v_mul_f64_e32 v[42:43], v[42:43], v[6:7]
	v_add_f64_e64 v[194:195], v[76:77], -v[72:73]
	s_delay_alu instid0(VALU_DEP_2)
	v_fma_f64 v[74:75], v[40:41], v[4:5], -v[42:43]
	s_clause 0x1
	global_load_b128 v[4:7], v60, s[2:3] offset:64
	global_load_b128 v[0:3], v60, s[2:3] offset:80
	v_add_f64_e32 v[200:201], v[76:77], v[72:73]
	v_mul_f64_e32 v[196:197], s[36:37], v[194:195]
	v_add_f64_e64 v[198:199], v[78:79], -v[74:75]
	s_delay_alu instid0(VALU_DEP_1)
	v_mul_f64_e32 v[202:203], s[36:37], v[198:199]
	s_wait_loadcnt 0x1
	v_mul_f64_e32 v[61:62], v[50:51], v[6:7]
	scratch_store_b128 off, v[4:7], off offset:236 ; 16-byte Folded Spill
	v_fma_f64 v[80:81], v[48:49], v[4:5], -v[61:62]
	v_mul_f64_e32 v[48:49], v[48:49], v[6:7]
	s_delay_alu instid0(VALU_DEP_1)
	v_fma_f64 v[82:83], v[50:51], v[4:5], v[48:49]
	ds_load_b128 v[48:51], v255 offset:13056
	ds_load_b128 v[90:93], v255 offset:15232
	s_wait_loadcnt 0x0
	scratch_store_b128 off, v[0:3], off offset:172 ; 16-byte Folded Spill
	s_wait_dscnt 0x1
	v_mul_f64_e32 v[61:62], v[50:51], v[2:3]
	s_delay_alu instid0(VALU_DEP_1) | instskip(SKIP_1) | instid1(VALU_DEP_1)
	v_fma_f64 v[84:85], v[48:49], v[0:1], -v[61:62]
	v_mul_f64_e32 v[48:49], v[48:49], v[2:3]
	v_fma_f64 v[86:87], v[50:51], v[0:1], v[48:49]
	s_clause 0x1
	global_load_b128 v[0:3], v60, s[2:3] offset:96
	global_load_b128 v[60:63], v60, s[2:3] offset:112
	s_wait_loadcnt_dscnt 0x100
	v_mul_f64_e32 v[88:89], v[92:93], v[2:3]
	scratch_store_b128 off, v[0:3], off offset:204 ; 16-byte Folded Spill
	v_fma_f64 v[88:89], v[90:91], v[0:1], -v[88:89]
	v_mul_f64_e32 v[90:91], v[90:91], v[2:3]
	s_delay_alu instid0(VALU_DEP_2) | instskip(NEXT) | instid1(VALU_DEP_2)
	v_add_f64_e32 v[218:219], v[84:85], v[88:89]
	v_fma_f64 v[90:91], v[92:93], v[0:1], v[90:91]
	s_wait_loadcnt 0x0
	v_mul_f64_e32 v[92:93], v[96:97], v[62:63]
	v_add_f64_e32 v[0:1], v[138:139], v[98:99]
	v_add_f64_e64 v[222:223], v[84:85], -v[88:89]
	s_delay_alu instid0(VALU_DEP_4) | instskip(NEXT) | instid1(VALU_DEP_4)
	v_add_f64_e64 v[216:217], v[86:87], -v[90:91]
	v_fma_f64 v[92:93], v[94:95], v[60:61], -v[92:93]
	v_mul_f64_e32 v[94:95], v[94:95], v[62:63]
	v_add_f64_e32 v[224:225], v[86:87], v[90:91]
	v_mul_f64_e32 v[244:245], s[22:23], v[222:223]
	scratch_store_b64 off, v[0:1], off offset:60 ; 8-byte Folded Spill
	v_mul_f64_e32 v[242:243], s[22:23], v[216:217]
	v_add_f64_e32 v[206:207], v[80:81], v[92:93]
	v_fma_f64 v[94:95], v[96:97], v[60:61], v[94:95]
	v_add_f64_e64 v[96:97], v[100:101], -v[22:23]
	v_add_f64_e64 v[210:211], v[80:81], -v[92:93]
	v_mul_f64_e32 v[36:37], s[24:25], v[216:217]
	v_mul_f64_e32 v[56:57], s[38:39], v[216:217]
	v_add_f64_e64 v[204:205], v[82:83], -v[94:95]
	v_mul_f64_e32 v[102:103], s[34:35], v[96:97]
	v_mul_f64_e32 v[104:105], s[28:29], v[96:97]
	;; [unrolled: 1-line block ×6, first 2 shown]
	v_add_f64_e32 v[212:213], v[82:83], v[94:95]
	v_mul_f64_e32 v[214:215], s[38:39], v[210:211]
	v_mul_f64_e32 v[240:241], s[28:29], v[210:211]
	v_fma_f64 v[38:39], v[218:219], s[10:11], -v[36:37]
	v_fma_f64 v[58:59], v[218:219], s[18:19], -v[56:57]
	v_mul_f64_e32 v[208:209], s[38:39], v[204:205]
	v_fma_f64 v[126:127], v[124:125], s[30:31], -v[102:103]
	v_fma_f64 v[102:103], v[124:125], s[30:31], v[102:103]
	v_fma_f64 v[130:131], v[124:125], s[18:19], -v[106:107]
	v_fma_f64 v[142:143], v[124:125], s[18:19], v[106:107]
	v_fma_f64 v[128:129], v[124:125], s[16:17], -v[104:105]
	v_fma_f64 v[148:149], v[124:125], s[0:1], -v[96:97]
	v_fma_f64 v[150:151], v[124:125], s[0:1], v[96:97]
	v_add_f64_e64 v[96:97], v[98:99], -v[20:21]
	v_fma_f64 v[104:105], v[124:125], s[16:17], v[104:105]
	v_fma_f64 v[144:145], v[124:125], s[10:11], -v[120:121]
	v_fma_f64 v[120:121], v[124:125], s[10:11], v[120:121]
	v_fma_f64 v[146:147], v[124:125], s[8:9], -v[122:123]
	v_fma_f64 v[122:123], v[124:125], s[8:9], v[122:123]
	v_add_f64_e32 v[98:99], v[140:141], v[100:101]
	v_mul_f64_e32 v[238:239], s[28:29], v[204:205]
	v_mul_f64_e32 v[52:53], s[24:25], v[204:205]
	v_add_f64_e32 v[100:101], v[138:139], v[102:103]
	v_add_f64_e32 v[182:183], v[138:139], v[130:131]
	;; [unrolled: 1-line block ×4, first 2 shown]
	v_mul_f64_e32 v[106:107], s[34:35], v[96:97]
	v_mul_f64_e32 v[132:133], s[26:27], v[96:97]
	;; [unrolled: 1-line block ×6, first 2 shown]
	v_add_f64_e32 v[186:187], v[138:139], v[144:145]
	v_add_f64_e32 v[168:169], v[138:139], v[146:147]
	;; [unrolled: 1-line block ×3, first 2 shown]
	v_add_f64_e64 v[146:147], v[28:29], -v[26:27]
	s_mov_b32 s35, 0x3fddbe06
	v_fma_f64 v[54:55], v[206:207], s[10:11], -v[52:53]
	s_wait_alu 0xfffe
	v_mul_f64_e32 v[220:221], s[34:35], v[216:217]
	v_mul_f64_e32 v[226:227], s[34:35], v[222:223]
	;; [unrolled: 1-line block ×5, first 2 shown]
	v_fma_f64 v[156:157], v[152:153], s[30:31], -v[106:107]
	v_fma_f64 v[160:161], v[152:153], s[18:19], v[132:133]
	v_fma_f64 v[164:165], v[152:153], s[10:11], v[134:135]
	v_fma_f64 v[166:167], v[152:153], s[10:11], -v[134:135]
	v_fma_f64 v[172:173], v[152:153], s[8:9], v[136:137]
	v_fma_f64 v[174:175], v[152:153], s[8:9], -v[136:137]
	v_add_f64_e32 v[136:137], v[138:139], v[126:127]
	v_add_f64_e32 v[134:135], v[138:139], v[104:105]
	;; [unrolled: 1-line block ×3, first 2 shown]
	v_fma_f64 v[154:155], v[152:153], s[30:31], v[106:107]
	v_fma_f64 v[158:159], v[152:153], s[16:17], v[124:125]
	v_fma_f64 v[124:125], v[152:153], s[16:17], -v[124:125]
	v_fma_f64 v[162:163], v[152:153], s[18:19], -v[132:133]
	v_fma_f64 v[176:177], v[152:153], s[0:1], v[96:97]
	v_fma_f64 v[152:153], v[152:153], s[0:1], -v[96:97]
	v_add_f64_e32 v[104:105], v[28:29], v[26:27]
	v_mul_f64_e32 v[230:231], s[20:21], v[146:147]
	v_mul_f64_e32 v[8:9], s[38:39], v[146:147]
	v_fma_f64 v[34:35], v[206:207], s[30:31], -v[32:33]
	v_mul_f64_e32 v[40:41], s[34:35], v[146:147]
	v_add_f64_e32 v[102:103], v[140:141], v[156:157]
	v_add_f64_e32 v[184:185], v[140:141], v[160:161]
	v_add_f64_e32 v[160:161], v[138:139], v[148:149]
	v_add_f64_e32 v[156:157], v[138:139], v[150:151]
	v_add_f64_e64 v[138:139], v[30:31], -v[24:25]
	v_add_f64_e32 v[188:189], v[140:141], v[164:165]
	v_add_f64_e32 v[120:121], v[140:141], v[174:175]
	v_mul_f64_e32 v[150:151], s[24:25], v[146:147]
	v_add_f64_e64 v[148:149], v[70:71], -v[64:65]
	v_add_f64_e32 v[106:107], v[140:141], v[154:155]
	v_add_f64_e32 v[180:181], v[140:141], v[158:159]
	;; [unrolled: 1-line block ×8, first 2 shown]
	v_mul_f64_e32 v[144:145], s[24:25], v[138:139]
	v_mul_f64_e32 v[228:229], s[20:21], v[138:139]
	;; [unrolled: 1-line block ×6, first 2 shown]
	v_fma_f64 v[140:141], v[104:105], s[10:11], -v[144:145]
	s_delay_alu instid0(VALU_DEP_1) | instskip(SKIP_1) | instid1(VALU_DEP_1)
	v_add_f64_e32 v[162:163], v[140:141], v[178:179]
	v_add_f64_e32 v[140:141], v[30:31], v[24:25]
	v_fma_f64 v[142:143], v[140:141], s[10:11], v[150:151]
	v_fma_f64 v[178:179], v[140:141], s[0:1], v[230:231]
	;; [unrolled: 1-line block ×4, first 2 shown]
	v_fma_f64 v[40:41], v[140:141], s[30:31], -v[40:41]
	v_fma_f64 v[8:9], v[140:141], s[18:19], -v[8:9]
	v_add_f64_e32 v[164:165], v[142:143], v[180:181]
	v_add_f64_e32 v[142:143], v[68:69], v[66:67]
	;; [unrolled: 1-line block ×3, first 2 shown]
	v_mul_f64_e32 v[184:185], s[40:41], v[148:149]
	s_mov_b32 s41, 0x3fea55e2
	s_mov_b32 s40, s28
	v_add_f64_e32 v[10:11], v[10:11], v[166:167]
	s_wait_alu 0xfffe
	v_mul_f64_e32 v[48:49], s[40:41], v[194:195]
	v_add_f64_e32 v[42:43], v[42:43], v[158:159]
	v_add_f64_e32 v[40:41], v[40:41], v[154:155]
	;; [unrolled: 1-line block ×3, first 2 shown]
	v_fma_f64 v[172:173], v[142:143], s[0:1], -v[152:153]
	v_fma_f64 v[14:15], v[142:143], s[16:17], -v[12:13]
	v_fma_f64 v[180:181], v[142:143], s[10:11], -v[184:185]
	v_fma_f64 v[46:47], v[142:143], s[8:9], -v[44:45]
	s_delay_alu instid0(VALU_DEP_4) | instskip(SKIP_1) | instid1(VALU_DEP_1)
	v_add_f64_e32 v[172:173], v[172:173], v[162:163]
	v_add_f64_e32 v[162:163], v[70:71], v[64:65]
	v_fma_f64 v[174:175], v[162:163], s[0:1], v[192:193]
	s_delay_alu instid0(VALU_DEP_1) | instskip(SKIP_1) | instid1(VALU_DEP_1)
	v_add_f64_e32 v[174:175], v[174:175], v[164:165]
	v_add_f64_e32 v[164:165], v[78:79], v[74:75]
	v_fma_f64 v[176:177], v[164:165], s[8:9], -v[196:197]
	v_fma_f64 v[50:51], v[164:165], s[16:17], -v[48:49]
	s_delay_alu instid0(VALU_DEP_2) | instskip(SKIP_1) | instid1(VALU_DEP_1)
	v_add_f64_e32 v[172:173], v[176:177], v[172:173]
	v_fma_f64 v[176:177], v[200:201], s[8:9], v[202:203]
	v_add_f64_e32 v[174:175], v[176:177], v[174:175]
	v_fma_f64 v[176:177], v[206:207], s[18:19], -v[208:209]
	s_delay_alu instid0(VALU_DEP_1) | instskip(SKIP_1) | instid1(VALU_DEP_1)
	v_add_f64_e32 v[172:173], v[176:177], v[172:173]
	v_fma_f64 v[176:177], v[212:213], s[18:19], v[214:215]
	v_add_f64_e32 v[174:175], v[176:177], v[174:175]
	v_fma_f64 v[176:177], v[218:219], s[30:31], -v[220:221]
	s_delay_alu instid0(VALU_DEP_1) | instskip(SKIP_1) | instid1(VALU_DEP_1)
	v_add_f64_e32 v[172:173], v[176:177], v[172:173]
	v_fma_f64 v[176:177], v[224:225], s[30:31], v[226:227]
	v_add_f64_e32 v[174:175], v[176:177], v[174:175]
	v_fma_f64 v[176:177], v[104:105], s[0:1], -v[228:229]
	s_delay_alu instid0(VALU_DEP_1) | instskip(NEXT) | instid1(VALU_DEP_1)
	v_add_f64_e32 v[176:177], v[176:177], v[182:183]
	v_add_f64_e32 v[176:177], v[180:181], v[176:177]
	v_fma_f64 v[180:181], v[162:163], s[10:11], v[232:233]
	s_delay_alu instid0(VALU_DEP_1) | instskip(SKIP_1) | instid1(VALU_DEP_1)
	v_add_f64_e32 v[178:179], v[180:181], v[178:179]
	v_fma_f64 v[180:181], v[164:165], s[30:31], -v[234:235]
	v_add_f64_e32 v[176:177], v[180:181], v[176:177]
	v_fma_f64 v[180:181], v[200:201], s[30:31], v[236:237]
	s_delay_alu instid0(VALU_DEP_1) | instskip(SKIP_1) | instid1(VALU_DEP_1)
	v_add_f64_e32 v[178:179], v[180:181], v[178:179]
	v_fma_f64 v[180:181], v[206:207], s[16:17], -v[238:239]
	;; [unrolled: 5-line block ×4, first 2 shown]
	v_add_f64_e32 v[180:181], v[180:181], v[186:187]
	v_mul_f64_e32 v[186:187], s[36:37], v[146:147]
	s_mov_b32 s37, 0x3fcea1e5
	s_mov_b32 s36, s20
	s_wait_alu 0xfffe
	v_mul_f64_e32 v[4:5], s[36:37], v[210:211]
	v_mul_f64_e32 v[0:1], s[36:37], v[204:205]
	;; [unrolled: 1-line block ×3, first 2 shown]
	s_delay_alu instid0(VALU_DEP_4) | instskip(NEXT) | instid1(VALU_DEP_4)
	v_fma_f64 v[182:183], v[140:141], s[8:9], v[186:187]
	v_fma_f64 v[6:7], v[212:213], s[0:1], v[4:5]
	s_delay_alu instid0(VALU_DEP_4) | instskip(NEXT) | instid1(VALU_DEP_4)
	v_fma_f64 v[2:3], v[206:207], s[0:1], -v[0:1]
	v_fma_f64 v[18:19], v[164:165], s[0:1], -v[16:17]
	v_fma_f64 v[0:1], v[206:207], s[0:1], v[0:1]
	v_fma_f64 v[4:5], v[212:213], s[0:1], -v[4:5]
	v_add_f64_e32 v[182:183], v[182:183], v[188:189]
	v_mul_f64_e32 v[188:189], s[34:35], v[148:149]
	s_delay_alu instid0(VALU_DEP_1) | instskip(NEXT) | instid1(VALU_DEP_1)
	v_fma_f64 v[248:249], v[142:143], s[30:31], -v[188:189]
	v_add_f64_e32 v[180:181], v[248:249], v[180:181]
	v_mul_f64_e32 v[248:249], s[34:35], v[190:191]
	s_delay_alu instid0(VALU_DEP_1) | instskip(NEXT) | instid1(VALU_DEP_1)
	v_fma_f64 v[250:251], v[162:163], s[30:31], v[248:249]
	v_add_f64_e32 v[182:183], v[250:251], v[182:183]
	v_mul_f64_e32 v[250:251], s[26:27], v[194:195]
	s_delay_alu instid0(VALU_DEP_1) | instskip(NEXT) | instid1(VALU_DEP_1)
	v_fma_f64 v[252:253], v[164:165], s[18:19], -v[250:251]
	v_add_f64_e32 v[180:181], v[252:253], v[180:181]
	v_mul_f64_e32 v[252:253], s[26:27], v[198:199]
	s_delay_alu instid0(VALU_DEP_2) | instskip(NEXT) | instid1(VALU_DEP_2)
	v_add_f64_e32 v[2:3], v[2:3], v[180:181]
	v_fma_f64 v[170:171], v[200:201], s[18:19], v[252:253]
	s_delay_alu instid0(VALU_DEP_1) | instskip(NEXT) | instid1(VALU_DEP_1)
	v_add_f64_e32 v[170:171], v[170:171], v[182:183]
	v_add_f64_e32 v[6:7], v[6:7], v[170:171]
	v_mul_f64_e32 v[170:171], s[40:41], v[216:217]
	s_delay_alu instid0(VALU_DEP_1) | instskip(NEXT) | instid1(VALU_DEP_1)
	v_fma_f64 v[180:181], v[218:219], s[16:17], -v[170:171]
	v_add_f64_e32 v[180:181], v[180:181], v[2:3]
	v_mul_f64_e32 v[2:3], s[40:41], v[222:223]
	s_delay_alu instid0(VALU_DEP_1) | instskip(SKIP_1) | instid1(VALU_DEP_2)
	v_fma_f64 v[182:183], v[224:225], s[16:17], v[2:3]
	v_fma_f64 v[2:3], v[224:225], s[16:17], -v[2:3]
	v_add_f64_e32 v[182:183], v[182:183], v[6:7]
	v_mul_f64_e32 v[6:7], s[38:39], v[138:139]
	s_delay_alu instid0(VALU_DEP_1) | instskip(SKIP_1) | instid1(VALU_DEP_2)
	v_fma_f64 v[96:97], v[104:105], s[18:19], -v[6:7]
	v_fma_f64 v[6:7], v[104:105], s[18:19], v[6:7]
	v_add_f64_e32 v[96:97], v[96:97], v[168:169]
	s_delay_alu instid0(VALU_DEP_2) | instskip(NEXT) | instid1(VALU_DEP_2)
	v_add_f64_e32 v[6:7], v[6:7], v[122:123]
	v_add_f64_e32 v[14:15], v[14:15], v[96:97]
	v_mul_f64_e32 v[96:97], s[28:29], v[190:191]
	s_delay_alu instid0(VALU_DEP_2) | instskip(NEXT) | instid1(VALU_DEP_2)
	v_add_f64_e32 v[14:15], v[18:19], v[14:15]
	v_fma_f64 v[166:167], v[162:163], s[16:17], v[96:97]
	v_mul_f64_e32 v[18:19], s[36:37], v[198:199]
	s_delay_alu instid0(VALU_DEP_3) | instskip(NEXT) | instid1(VALU_DEP_3)
	v_add_f64_e32 v[14:15], v[34:35], v[14:15]
	v_add_f64_e32 v[10:11], v[166:167], v[10:11]
	s_delay_alu instid0(VALU_DEP_3) | instskip(SKIP_1) | instid1(VALU_DEP_2)
	v_fma_f64 v[166:167], v[200:201], s[0:1], v[18:19]
	v_mul_f64_e32 v[34:35], s[34:35], v[210:211]
	v_add_f64_e32 v[10:11], v[166:167], v[10:11]
	s_delay_alu instid0(VALU_DEP_2) | instskip(NEXT) | instid1(VALU_DEP_1)
	v_fma_f64 v[166:167], v[212:213], s[30:31], v[34:35]
	v_add_f64_e32 v[10:11], v[166:167], v[10:11]
	v_add_f64_e32 v[166:167], v[38:39], v[14:15]
	v_mul_f64_e32 v[14:15], s[24:25], v[222:223]
	s_delay_alu instid0(VALU_DEP_1) | instskip(NEXT) | instid1(VALU_DEP_1)
	v_fma_f64 v[38:39], v[224:225], s[10:11], v[14:15]
	v_add_f64_e32 v[168:169], v[38:39], v[10:11]
	v_mul_f64_e32 v[10:11], s[34:35], v[138:139]
	s_delay_alu instid0(VALU_DEP_1) | instskip(SKIP_1) | instid1(VALU_DEP_2)
	v_fma_f64 v[38:39], v[104:105], s[30:31], -v[10:11]
	v_fma_f64 v[10:11], v[104:105], s[30:31], v[10:11]
	v_add_f64_e32 v[38:39], v[38:39], v[160:161]
	s_delay_alu instid0(VALU_DEP_2) | instskip(NEXT) | instid1(VALU_DEP_2)
	v_add_f64_e32 v[10:11], v[10:11], v[156:157]
	v_add_f64_e32 v[38:39], v[46:47], v[38:39]
	v_mul_f64_e32 v[46:47], s[22:23], v[190:191]
	s_delay_alu instid0(VALU_DEP_2) | instskip(NEXT) | instid1(VALU_DEP_2)
	v_add_f64_e32 v[38:39], v[50:51], v[38:39]
	v_fma_f64 v[158:159], v[162:163], s[8:9], v[46:47]
	v_mul_f64_e32 v[50:51], s[40:41], v[198:199]
	s_delay_alu instid0(VALU_DEP_3) | instskip(NEXT) | instid1(VALU_DEP_3)
	v_add_f64_e32 v[38:39], v[54:55], v[38:39]
	v_add_f64_e32 v[42:43], v[158:159], v[42:43]
	s_delay_alu instid0(VALU_DEP_3) | instskip(SKIP_1) | instid1(VALU_DEP_2)
	v_fma_f64 v[158:159], v[200:201], s[16:17], v[50:51]
	v_mul_f64_e32 v[54:55], s[24:25], v[210:211]
	v_add_f64_e32 v[42:43], v[158:159], v[42:43]
	s_delay_alu instid0(VALU_DEP_2) | instskip(NEXT) | instid1(VALU_DEP_1)
	v_fma_f64 v[158:159], v[212:213], s[10:11], v[54:55]
	v_add_f64_e32 v[42:43], v[158:159], v[42:43]
	v_add_f64_e32 v[158:159], v[58:59], v[38:39]
	v_mul_f64_e32 v[38:39], s[38:39], v[222:223]
	s_delay_alu instid0(VALU_DEP_1) | instskip(SKIP_1) | instid1(VALU_DEP_2)
	v_fma_f64 v[58:59], v[224:225], s[18:19], v[38:39]
	v_fma_f64 v[38:39], v[224:225], s[18:19], -v[38:39]
	v_add_f64_e32 v[160:161], v[58:59], v[42:43]
	v_fma_f64 v[42:43], v[142:143], s[8:9], v[44:45]
	s_delay_alu instid0(VALU_DEP_1) | instskip(SKIP_1) | instid1(VALU_DEP_1)
	v_add_f64_e32 v[10:11], v[42:43], v[10:11]
	v_fma_f64 v[42:43], v[162:163], s[8:9], -v[46:47]
	v_add_f64_e32 v[40:41], v[42:43], v[40:41]
	v_fma_f64 v[42:43], v[164:165], s[16:17], v[48:49]
	s_delay_alu instid0(VALU_DEP_1) | instskip(SKIP_1) | instid1(VALU_DEP_1)
	v_add_f64_e32 v[10:11], v[42:43], v[10:11]
	;; [unrolled: 5-line block ×3, first 2 shown]
	v_fma_f64 v[42:43], v[212:213], s[10:11], -v[54:55]
	v_add_f64_e32 v[40:41], v[42:43], v[40:41]
	v_fma_f64 v[42:43], v[218:219], s[18:19], v[56:57]
	s_delay_alu instid0(VALU_DEP_2) | instskip(NEXT) | instid1(VALU_DEP_2)
	v_add_f64_e32 v[156:157], v[38:39], v[40:41]
	v_add_f64_e32 v[154:155], v[42:43], v[10:11]
	v_fma_f64 v[10:11], v[142:143], s[16:17], v[12:13]
	v_fma_f64 v[12:13], v[224:225], s[10:11], -v[14:15]
	s_delay_alu instid0(VALU_DEP_2) | instskip(SKIP_1) | instid1(VALU_DEP_1)
	v_add_f64_e32 v[6:7], v[10:11], v[6:7]
	v_fma_f64 v[10:11], v[162:163], s[16:17], -v[96:97]
	v_add_f64_e32 v[8:9], v[10:11], v[8:9]
	v_fma_f64 v[10:11], v[164:165], s[0:1], v[16:17]
	s_delay_alu instid0(VALU_DEP_1) | instskip(SKIP_1) | instid1(VALU_DEP_1)
	v_add_f64_e32 v[6:7], v[10:11], v[6:7]
	v_fma_f64 v[10:11], v[200:201], s[0:1], -v[18:19]
	v_add_f64_e32 v[8:9], v[10:11], v[8:9]
	v_fma_f64 v[10:11], v[206:207], s[30:31], v[32:33]
	s_delay_alu instid0(VALU_DEP_1) | instskip(SKIP_2) | instid1(VALU_DEP_2)
	v_add_f64_e32 v[6:7], v[10:11], v[6:7]
	v_fma_f64 v[10:11], v[212:213], s[30:31], -v[34:35]
	v_mul_f64_e32 v[34:35], s[20:21], v[222:223]
	v_add_f64_e32 v[8:9], v[10:11], v[8:9]
	v_fma_f64 v[10:11], v[218:219], s[10:11], v[36:37]
	s_delay_alu instid0(VALU_DEP_2) | instskip(NEXT) | instid1(VALU_DEP_2)
	v_add_f64_e32 v[122:123], v[12:13], v[8:9]
	v_add_f64_e32 v[120:121], v[10:11], v[6:7]
	v_fma_f64 v[6:7], v[104:105], s[8:9], v[246:247]
	v_fma_f64 v[8:9], v[140:141], s[8:9], -v[186:187]
	v_fma_f64 v[10:11], v[142:143], s[30:31], v[188:189]
	s_delay_alu instid0(VALU_DEP_3) | instskip(NEXT) | instid1(VALU_DEP_3)
	v_add_f64_e32 v[6:7], v[6:7], v[126:127]
	v_add_f64_e32 v[8:9], v[8:9], v[124:125]
	s_delay_alu instid0(VALU_DEP_2) | instskip(SKIP_1) | instid1(VALU_DEP_1)
	v_add_f64_e32 v[6:7], v[10:11], v[6:7]
	v_fma_f64 v[10:11], v[162:163], s[30:31], -v[248:249]
	v_add_f64_e32 v[8:9], v[10:11], v[8:9]
	v_fma_f64 v[10:11], v[164:165], s[18:19], v[250:251]
	s_delay_alu instid0(VALU_DEP_1) | instskip(SKIP_1) | instid1(VALU_DEP_2)
	v_add_f64_e32 v[6:7], v[10:11], v[6:7]
	v_fma_f64 v[10:11], v[200:201], s[18:19], -v[252:253]
	v_add_f64_e32 v[0:1], v[0:1], v[6:7]
	s_delay_alu instid0(VALU_DEP_2) | instskip(SKIP_1) | instid1(VALU_DEP_2)
	v_add_f64_e32 v[8:9], v[10:11], v[8:9]
	v_fma_f64 v[6:7], v[218:219], s[16:17], v[170:171]
	v_add_f64_e32 v[4:5], v[4:5], v[8:9]
	s_delay_alu instid0(VALU_DEP_2)
	v_add_f64_e32 v[124:125], v[6:7], v[0:1]
	v_fma_f64 v[0:1], v[104:105], s[0:1], v[228:229]
	v_fma_f64 v[6:7], v[224:225], s[8:9], -v[244:245]
	v_mul_f64_e32 v[8:9], s[26:27], v[148:149]
	v_add_f64_e32 v[126:127], v[2:3], v[4:5]
	v_fma_f64 v[2:3], v[140:141], s[0:1], -v[230:231]
	v_add_f64_e32 v[0:1], v[0:1], v[130:131]
	v_fma_f64 v[4:5], v[142:143], s[10:11], v[184:185]
	v_fma_f64 v[10:11], v[142:143], s[18:19], -v[8:9]
	s_delay_alu instid0(VALU_DEP_4) | instskip(NEXT) | instid1(VALU_DEP_3)
	v_add_f64_e32 v[2:3], v[2:3], v[128:129]
	v_add_f64_e32 v[0:1], v[4:5], v[0:1]
	v_fma_f64 v[4:5], v[162:163], s[10:11], -v[232:233]
	s_delay_alu instid0(VALU_DEP_1) | instskip(SKIP_1) | instid1(VALU_DEP_1)
	v_add_f64_e32 v[2:3], v[4:5], v[2:3]
	v_fma_f64 v[4:5], v[164:165], s[30:31], v[234:235]
	v_add_f64_e32 v[0:1], v[4:5], v[0:1]
	v_fma_f64 v[4:5], v[200:201], s[30:31], -v[236:237]
	s_delay_alu instid0(VALU_DEP_1) | instskip(SKIP_1) | instid1(VALU_DEP_1)
	v_add_f64_e32 v[2:3], v[4:5], v[2:3]
	v_fma_f64 v[4:5], v[206:207], s[16:17], v[238:239]
	v_add_f64_e32 v[0:1], v[4:5], v[0:1]
	v_fma_f64 v[4:5], v[212:213], s[16:17], -v[240:241]
	s_delay_alu instid0(VALU_DEP_1) | instskip(SKIP_1) | instid1(VALU_DEP_2)
	v_add_f64_e32 v[2:3], v[4:5], v[2:3]
	v_fma_f64 v[4:5], v[218:219], s[8:9], v[242:243]
	v_add_f64_e32 v[130:131], v[6:7], v[2:3]
	s_delay_alu instid0(VALU_DEP_2) | instskip(SKIP_4) | instid1(VALU_DEP_4)
	v_add_f64_e32 v[128:129], v[4:5], v[0:1]
	v_fma_f64 v[0:1], v[104:105], s[10:11], v[144:145]
	v_fma_f64 v[2:3], v[140:141], s[10:11], -v[150:151]
	v_fma_f64 v[4:5], v[142:143], s[0:1], v[152:153]
	v_fma_f64 v[6:7], v[224:225], s[30:31], -v[226:227]
	v_add_f64_e32 v[0:1], v[0:1], v[134:135]
	s_delay_alu instid0(VALU_DEP_4) | instskip(NEXT) | instid1(VALU_DEP_2)
	v_add_f64_e32 v[2:3], v[2:3], v[132:133]
	v_add_f64_e32 v[0:1], v[4:5], v[0:1]
	v_fma_f64 v[4:5], v[162:163], s[0:1], -v[192:193]
	s_delay_alu instid0(VALU_DEP_1) | instskip(SKIP_1) | instid1(VALU_DEP_1)
	v_add_f64_e32 v[2:3], v[4:5], v[2:3]
	v_fma_f64 v[4:5], v[164:165], s[8:9], v[196:197]
	v_add_f64_e32 v[0:1], v[4:5], v[0:1]
	v_fma_f64 v[4:5], v[200:201], s[8:9], -v[202:203]
	s_delay_alu instid0(VALU_DEP_1) | instskip(SKIP_1) | instid1(VALU_DEP_1)
	v_add_f64_e32 v[2:3], v[4:5], v[2:3]
	v_fma_f64 v[4:5], v[206:207], s[18:19], v[208:209]
	v_add_f64_e32 v[0:1], v[4:5], v[0:1]
	v_fma_f64 v[4:5], v[212:213], s[18:19], -v[214:215]
	s_delay_alu instid0(VALU_DEP_1) | instskip(SKIP_1) | instid1(VALU_DEP_2)
	v_add_f64_e32 v[2:3], v[4:5], v[2:3]
	v_fma_f64 v[4:5], v[218:219], s[30:31], v[220:221]
	v_add_f64_e32 v[134:135], v[6:7], v[2:3]
	s_delay_alu instid0(VALU_DEP_2) | instskip(SKIP_2) | instid1(VALU_DEP_2)
	v_add_f64_e32 v[132:133], v[4:5], v[0:1]
	v_mul_f64_e32 v[0:1], s[28:29], v[138:139]
	v_mul_f64_e32 v[4:5], s[28:29], v[146:147]
	v_fma_f64 v[2:3], v[104:105], s[16:17], -v[0:1]
	s_delay_alu instid0(VALU_DEP_2) | instskip(SKIP_1) | instid1(VALU_DEP_3)
	v_fma_f64 v[6:7], v[140:141], s[16:17], v[4:5]
	v_fma_f64 v[0:1], v[104:105], s[16:17], v[0:1]
	v_add_f64_e32 v[2:3], v[2:3], v[136:137]
	s_delay_alu instid0(VALU_DEP_3) | instskip(NEXT) | instid1(VALU_DEP_3)
	v_add_f64_e32 v[6:7], v[6:7], v[106:107]
	v_add_f64_e32 v[0:1], v[0:1], v[100:101]
	s_delay_alu instid0(VALU_DEP_3) | instskip(SKIP_1) | instid1(VALU_DEP_1)
	v_add_f64_e32 v[2:3], v[10:11], v[2:3]
	v_mul_f64_e32 v[10:11], s[26:27], v[190:191]
	v_fma_f64 v[12:13], v[162:163], s[18:19], v[10:11]
	s_delay_alu instid0(VALU_DEP_1) | instskip(SKIP_1) | instid1(VALU_DEP_1)
	v_add_f64_e32 v[6:7], v[12:13], v[6:7]
	v_mul_f64_e32 v[12:13], s[24:25], v[194:195]
	v_fma_f64 v[14:15], v[164:165], s[10:11], -v[12:13]
	s_delay_alu instid0(VALU_DEP_1) | instskip(SKIP_1) | instid1(VALU_DEP_1)
	v_add_f64_e32 v[2:3], v[14:15], v[2:3]
	v_mul_f64_e32 v[14:15], s[24:25], v[198:199]
	v_fma_f64 v[16:17], v[200:201], s[10:11], v[14:15]
	s_delay_alu instid0(VALU_DEP_1) | instskip(SKIP_1) | instid1(VALU_DEP_1)
	v_add_f64_e32 v[6:7], v[16:17], v[6:7]
	v_mul_f64_e32 v[16:17], s[22:23], v[204:205]
	v_fma_f64 v[18:19], v[206:207], s[8:9], -v[16:17]
	s_delay_alu instid0(VALU_DEP_1) | instskip(SKIP_1) | instid1(VALU_DEP_1)
	;; [unrolled: 8-line block ×3, first 2 shown]
	v_add_f64_e32 v[136:137], v[36:37], v[2:3]
	v_fma_f64 v[2:3], v[224:225], s[0:1], v[34:35]
	v_add_f64_e32 v[138:139], v[2:3], v[6:7]
	scratch_load_b64 v[2:3], off, off offset:60 th:TH_LOAD_LU ; 8-byte Folded Reload
	v_add_f64_e32 v[6:7], v[98:99], v[30:31]
	s_delay_alu instid0(VALU_DEP_1) | instskip(NEXT) | instid1(VALU_DEP_1)
	v_add_f64_e32 v[6:7], v[6:7], v[70:71]
	v_add_f64_e32 v[6:7], v[6:7], v[76:77]
	s_delay_alu instid0(VALU_DEP_1) | instskip(NEXT) | instid1(VALU_DEP_1)
	v_add_f64_e32 v[6:7], v[6:7], v[82:83]
	;; [unrolled: 3-line block ×4, first 2 shown]
	v_add_f64_e32 v[6:7], v[6:7], v[64:65]
	s_wait_loadcnt 0x0
	v_add_f64_e32 v[2:3], v[2:3], v[28:29]
	s_delay_alu instid0(VALU_DEP_2) | instskip(NEXT) | instid1(VALU_DEP_2)
	v_add_f64_e32 v[6:7], v[6:7], v[24:25]
	v_add_f64_e32 v[2:3], v[2:3], v[68:69]
	s_delay_alu instid0(VALU_DEP_2) | instskip(SKIP_2) | instid1(VALU_DEP_4)
	v_add_f64_e32 v[22:23], v[6:7], v[22:23]
	v_fma_f64 v[6:7], v[162:163], s[18:19], -v[10:11]
	v_fma_f64 v[10:11], v[200:201], s[10:11], -v[14:15]
	v_add_f64_e32 v[2:3], v[2:3], v[78:79]
	s_delay_alu instid0(VALU_DEP_1) | instskip(NEXT) | instid1(VALU_DEP_1)
	v_add_f64_e32 v[2:3], v[2:3], v[80:81]
	v_add_f64_e32 v[2:3], v[2:3], v[84:85]
	s_delay_alu instid0(VALU_DEP_1) | instskip(NEXT) | instid1(VALU_DEP_1)
	v_add_f64_e32 v[2:3], v[2:3], v[88:89]
	;; [unrolled: 3-line block ×4, first 2 shown]
	v_add_f64_e32 v[20:21], v[2:3], v[20:21]
	v_fma_f64 v[2:3], v[140:141], s[16:17], -v[4:5]
	v_fma_f64 v[4:5], v[142:143], s[18:19], v[8:9]
	v_fma_f64 v[8:9], v[164:165], s[10:11], v[12:13]
	s_delay_alu instid0(VALU_DEP_3) | instskip(NEXT) | instid1(VALU_DEP_3)
	v_add_f64_e32 v[2:3], v[2:3], v[102:103]
	v_add_f64_e32 v[0:1], v[4:5], v[0:1]
	v_fma_f64 v[4:5], v[206:207], s[8:9], v[16:17]
	s_delay_alu instid0(VALU_DEP_3) | instskip(NEXT) | instid1(VALU_DEP_3)
	v_add_f64_e32 v[2:3], v[6:7], v[2:3]
	v_add_f64_e32 v[0:1], v[8:9], v[0:1]
	v_fma_f64 v[8:9], v[218:219], s[0:1], v[32:33]
	v_fma_f64 v[6:7], v[212:213], s[8:9], -v[18:19]
	s_delay_alu instid0(VALU_DEP_4) | instskip(NEXT) | instid1(VALU_DEP_4)
	v_add_f64_e32 v[2:3], v[10:11], v[2:3]
	v_add_f64_e32 v[0:1], v[4:5], v[0:1]
	v_fma_f64 v[10:11], v[224:225], s[0:1], -v[34:35]
	v_cmp_gt_u16_e64 s0, 0x55, v254
	s_delay_alu instid0(VALU_DEP_4) | instskip(NEXT) | instid1(VALU_DEP_4)
	v_add_f64_e32 v[2:3], v[6:7], v[2:3]
	v_add_f64_e32 v[140:141], v[8:9], v[0:1]
	s_clause 0x1
	scratch_load_b32 v0, off, off offset:28 th:TH_LOAD_LU
	scratch_load_b32 v1, off, off offset:44 th:TH_LOAD_LU
	global_wb scope:SCOPE_SE
	s_wait_loadcnt 0x0
	s_wait_storecnt 0x0
	s_barrier_signal -1
	s_barrier_wait -1
	global_inv scope:SCOPE_SE
	v_add_f64_e32 v[142:143], v[10:11], v[2:3]
	v_and_b32_e32 v0, 0xffff, v0
	s_delay_alu instid0(VALU_DEP_1) | instskip(NEXT) | instid1(VALU_DEP_1)
	v_mul_u32_u24_e32 v0, 0xdd, v0
	v_add_lshl_u32 v192, v0, v1, 4
	ds_store_b128 v192, v[172:175] offset:544
	ds_store_b128 v192, v[176:179] offset:816
	;; [unrolled: 1-line block ×7, first 2 shown]
	ds_store_b128 v192, v[20:23]
	ds_store_b128 v192, v[120:123] offset:2176
	ds_store_b128 v192, v[124:127] offset:2448
	;; [unrolled: 1-line block ×5, first 2 shown]
	global_wb scope:SCOPE_SE
	s_wait_dscnt 0x0
	s_barrier_signal -1
	s_barrier_wait -1
	global_inv scope:SCOPE_SE
	ds_load_b128 v[136:139], v255
	ds_load_b128 v[168:171], v255 offset:3536
	ds_load_b128 v[164:167], v255 offset:7072
	ds_load_b128 v[160:163], v255 offset:10608
	ds_load_b128 v[152:155], v255 offset:14144
	ds_load_b128 v[144:147], v255 offset:17680
	ds_load_b128 v[156:159], v255 offset:21216
	ds_load_b128 v[148:151], v255 offset:24752
	s_and_saveexec_b32 s1, s0
	s_cbranch_execz .LBB0_9
; %bb.8:
	ds_load_b128 v[120:123], v255 offset:2176
	ds_load_b128 v[124:127], v255 offset:5712
	;; [unrolled: 1-line block ×8, first 2 shown]
.LBB0_9:
	s_wait_alu 0xfffe
	s_or_b32 exec_lo, exec_lo, s1
	scratch_load_b32 v3, off, off           ; 4-byte Folded Reload
	s_mov_b32 s9, 0x3fe6a09e
	s_wait_loadcnt 0x0
	v_add_nc_u32_e32 v2, 0x88, v3
	v_mad_co_u64_u32 v[0:1], null, 0x70, v3, s[2:3]
	v_add_nc_u32_e32 v3, 0xffffffab, v3
	s_clause 0x1
	global_load_b128 v[88:91], v[0:1], off offset:3280
	global_load_b128 v[96:99], v[0:1], off offset:3264
	v_cndmask_b32_e64 v2, v3, v2, s0
	s_clause 0x2
	global_load_b128 v[176:179], v[0:1], off offset:3312
	global_load_b128 v[84:87], v[0:1], off offset:3296
	;; [unrolled: 1-line block ×3, first 2 shown]
	v_mul_i32_i24_e32 v3, 0x70, v2
	v_mul_hi_i32_i24_e32 v4, 0x70, v2
	s_delay_alu instid0(VALU_DEP_2) | instskip(SKIP_1) | instid1(VALU_DEP_2)
	v_add_co_u32 v2, s1, s2, v3
	s_wait_alu 0xf1ff
	v_add_co_ci_u32_e64 v3, s1, s3, v4, s1
	s_clause 0x8
	global_load_b128 v[104:107], v[0:1], off offset:3328
	global_load_b128 v[92:95], v[0:1], off offset:3360
	;; [unrolled: 1-line block ×9, first 2 shown]
	s_mov_b32 s2, 0x667f3bcd
	s_mov_b32 s3, 0xbfe6a09e
	s_wait_alu 0xfffe
	s_mov_b32 s8, s2
	s_wait_loadcnt_dscnt 0xd05
	v_mul_f64_e32 v[4:5], v[166:167], v[90:91]
	s_wait_loadcnt 0xc
	v_mul_f64_e32 v[0:1], v[170:171], v[98:99]
	v_mul_f64_e32 v[2:3], v[168:169], v[98:99]
	;; [unrolled: 1-line block ×3, first 2 shown]
	s_wait_loadcnt_dscnt 0xa04
	v_mul_f64_e32 v[8:9], v[162:163], v[86:87]
	v_mul_f64_e32 v[10:11], v[160:161], v[86:87]
	s_wait_dscnt 0x3
	v_mul_f64_e32 v[12:13], v[154:155], v[178:179]
	v_mul_f64_e32 v[14:15], v[152:153], v[178:179]
	s_wait_loadcnt_dscnt 0x901
	v_mul_f64_e32 v[16:17], v[158:159], v[102:103]
	v_mul_f64_e32 v[18:19], v[156:157], v[102:103]
	s_wait_loadcnt 0x8
	v_mul_f64_e32 v[20:21], v[146:147], v[106:107]
	v_mul_f64_e32 v[22:23], v[144:145], v[106:107]
	s_wait_loadcnt_dscnt 0x700
	v_mul_f64_e32 v[32:33], v[150:151], v[94:95]
	v_mul_f64_e32 v[34:35], v[148:149], v[94:95]
	s_wait_loadcnt 0x6
	v_mul_f64_e32 v[36:37], v[126:127], v[66:67]
	v_mul_f64_e32 v[38:39], v[124:125], v[66:67]
	s_wait_loadcnt 0x5
	;; [unrolled: 3-line block ×7, first 2 shown]
	v_mul_f64_e32 v[172:173], v[110:111], v[78:79]
	v_mul_f64_e32 v[174:175], v[108:109], v[78:79]
	s_clause 0xa
	scratch_store_b128 off, v[176:179], off offset:300
	scratch_store_b128 off, v[92:95], off offset:284
	;; [unrolled: 1-line block ×11, first 2 shown]
	v_fma_f64 v[0:1], v[168:169], v[96:97], -v[0:1]
	v_fma_f64 v[2:3], v[170:171], v[96:97], v[2:3]
	v_fma_f64 v[4:5], v[164:165], v[88:89], -v[4:5]
	v_fma_f64 v[6:7], v[166:167], v[88:89], v[6:7]
	;; [unrolled: 2-line block ×14, first 2 shown]
	v_add_f64_e64 v[12:13], v[136:137], -v[12:13]
	v_add_f64_e64 v[14:15], v[138:139], -v[14:15]
	;; [unrolled: 1-line block ×16, first 2 shown]
	v_fma_f64 v[112:113], v[136:137], 2.0, -v[12:13]
	v_fma_f64 v[114:115], v[138:139], 2.0, -v[14:15]
	v_fma_f64 v[4:5], v[4:5], 2.0, -v[16:17]
	v_fma_f64 v[6:7], v[6:7], 2.0, -v[18:19]
	v_fma_f64 v[0:1], v[0:1], 2.0, -v[20:21]
	v_fma_f64 v[2:3], v[2:3], 2.0, -v[22:23]
	v_fma_f64 v[8:9], v[8:9], 2.0, -v[32:33]
	v_fma_f64 v[10:11], v[10:11], 2.0, -v[34:35]
	v_add_f64_e64 v[18:19], v[12:13], -v[18:19]
	v_add_f64_e32 v[16:17], v[14:15], v[16:17]
	v_add_f64_e64 v[34:35], v[20:21], -v[34:35]
	v_add_f64_e32 v[32:33], v[22:23], v[32:33]
	v_fma_f64 v[116:117], v[120:121], 2.0, -v[44:45]
	v_fma_f64 v[118:119], v[122:123], 2.0, -v[46:47]
	;; [unrolled: 1-line block ×6, first 2 shown]
	v_add_f64_e64 v[50:51], v[44:45], -v[50:51]
	v_add_f64_e32 v[48:49], v[46:47], v[48:49]
	v_fma_f64 v[56:57], v[56:57], 2.0, -v[108:109]
	v_fma_f64 v[58:59], v[58:59], 2.0, -v[110:111]
	v_add_f64_e64 v[110:111], v[52:53], -v[110:111]
	v_add_f64_e32 v[108:109], v[54:55], v[108:109]
	v_add_f64_e64 v[4:5], v[112:113], -v[4:5]
	v_add_f64_e64 v[6:7], v[114:115], -v[6:7]
	;; [unrolled: 1-line block ×4, first 2 shown]
	v_fma_f64 v[12:13], v[12:13], 2.0, -v[18:19]
	v_fma_f64 v[14:15], v[14:15], 2.0, -v[16:17]
	;; [unrolled: 1-line block ×4, first 2 shown]
	s_wait_alu 0xfffe
	v_fma_f64 v[120:121], v[34:35], s[8:9], v[18:19]
	v_fma_f64 v[122:123], v[32:33], s[8:9], v[16:17]
	v_add_f64_e64 v[40:41], v[116:117], -v[40:41]
	v_add_f64_e64 v[42:43], v[118:119], -v[42:43]
	v_fma_f64 v[44:45], v[44:45], 2.0, -v[50:51]
	v_fma_f64 v[46:47], v[46:47], 2.0, -v[48:49]
	v_add_f64_e64 v[56:57], v[36:37], -v[56:57]
	v_add_f64_e64 v[58:59], v[38:39], -v[58:59]
	v_fma_f64 v[52:53], v[52:53], 2.0, -v[110:111]
	v_fma_f64 v[54:55], v[54:55], 2.0, -v[108:109]
	v_fma_f64 v[124:125], v[110:111], s[8:9], v[50:51]
	v_fma_f64 v[136:137], v[108:109], s[8:9], v[48:49]
	v_fma_f64 v[112:113], v[112:113], 2.0, -v[4:5]
	v_fma_f64 v[114:115], v[114:115], 2.0, -v[6:7]
	;; [unrolled: 1-line block ×4, first 2 shown]
	v_add_f64_e64 v[160:161], v[4:5], -v[10:11]
	v_add_f64_e32 v[162:163], v[6:7], v[8:9]
	v_fma_f64 v[126:127], v[20:21], s[2:3], v[12:13]
	v_fma_f64 v[130:131], v[22:23], s[2:3], v[14:15]
	;; [unrolled: 1-line block ×4, first 2 shown]
	v_fma_f64 v[116:117], v[116:117], 2.0, -v[40:41]
	v_fma_f64 v[118:119], v[118:119], 2.0, -v[42:43]
	v_fma_f64 v[36:37], v[36:37], 2.0, -v[56:57]
	v_fma_f64 v[38:39], v[38:39], 2.0, -v[58:59]
	v_fma_f64 v[132:133], v[52:53], s[2:3], v[44:45]
	v_fma_f64 v[134:135], v[54:55], s[2:3], v[46:47]
	v_add_f64_e64 v[128:129], v[40:41], -v[58:59]
	v_fma_f64 v[124:125], v[108:109], s[2:3], v[124:125]
	v_add_f64_e64 v[148:149], v[112:113], -v[0:1]
	v_add_f64_e64 v[150:151], v[114:115], -v[2:3]
	v_fma_f64 v[140:141], v[4:5], 2.0, -v[160:161]
	v_fma_f64 v[142:143], v[6:7], 2.0, -v[162:163]
	v_fma_f64 v[156:157], v[22:23], s[2:3], v[126:127]
	v_fma_f64 v[158:159], v[20:21], s[8:9], v[130:131]
	v_add_f64_e32 v[130:131], v[42:43], v[56:57]
	v_fma_f64 v[126:127], v[110:111], s[8:9], v[136:137]
	v_fma_f64 v[152:153], v[18:19], 2.0, -v[164:165]
	v_fma_f64 v[154:155], v[16:17], 2.0, -v[166:167]
	v_add_f64_e64 v[144:145], v[116:117], -v[36:37]
	v_add_f64_e64 v[146:147], v[118:119], -v[38:39]
	v_fma_f64 v[132:133], v[54:55], s[2:3], v[132:133]
	v_fma_f64 v[134:135], v[52:53], s[8:9], v[134:135]
	v_fma_f64 v[172:173], v[40:41], 2.0, -v[128:129]
	v_fma_f64 v[168:169], v[50:51], 2.0, -v[124:125]
	;; [unrolled: 1-line block ×8, first 2 shown]
	ds_store_b128 v255, v[120:123]
	ds_store_b128 v255, v[136:139] offset:3536
	ds_store_b128 v255, v[140:143] offset:7072
	;; [unrolled: 1-line block ×7, first 2 shown]
	v_fma_f64 v[176:177], v[116:117], 2.0, -v[144:145]
	v_fma_f64 v[178:179], v[118:119], 2.0, -v[146:147]
	;; [unrolled: 1-line block ×4, first 2 shown]
	s_and_saveexec_b32 s1, s0
	s_cbranch_execz .LBB0_11
; %bb.10:
	ds_store_b128 v255, v[176:179] offset:2176
	ds_store_b128 v255, v[180:183] offset:5712
	;; [unrolled: 1-line block ×8, first 2 shown]
.LBB0_11:
	s_wait_alu 0xfffe
	s_or_b32 exec_lo, exec_lo, s1
	global_wb scope:SCOPE_SE
	s_wait_storecnt_dscnt 0x0
	s_barrier_signal -1
	s_barrier_wait -1
	global_inv scope:SCOPE_SE
	s_and_saveexec_b32 s1, vcc_lo
	s_cbranch_execz .LBB0_13
; %bb.12:
	global_load_b128 v[108:111], v255, s[12:13] offset:28288
	s_add_nc_u64 s[2:3], s[12:13], 0x6e80
	s_clause 0x3
	global_load_b128 v[112:115], v255, s[2:3] offset:1664
	global_load_b128 v[116:119], v255, s[2:3] offset:3328
	;; [unrolled: 1-line block ×4, first 2 shown]
	ds_load_b128 v[193:196], v255
	ds_load_b128 v[197:200], v255 offset:1664
	ds_load_b128 v[201:204], v255 offset:26624
	s_wait_loadcnt_dscnt 0x301
	v_mul_f64_e32 v[4:5], v[199:200], v[114:115]
	v_mul_f64_e32 v[0:1], v[195:196], v[110:111]
	;; [unrolled: 1-line block ×4, first 2 shown]
	s_delay_alu instid0(VALU_DEP_4) | instskip(NEXT) | instid1(VALU_DEP_4)
	v_fma_f64 v[197:198], v[197:198], v[112:113], -v[4:5]
	v_fma_f64 v[193:194], v[193:194], v[108:109], -v[0:1]
	s_delay_alu instid0(VALU_DEP_4)
	v_fma_f64 v[195:196], v[195:196], v[108:109], v[2:3]
	ds_load_b128 v[108:111], v255 offset:3328
	ds_load_b128 v[205:208], v255 offset:4992
	v_fma_f64 v[199:200], v[199:200], v[112:113], v[6:7]
	global_load_b128 v[112:115], v255, s[2:3] offset:8320
	s_wait_loadcnt_dscnt 0x301
	v_mul_f64_e32 v[0:1], v[110:111], v[118:119]
	v_mul_f64_e32 v[2:3], v[108:109], v[118:119]
	s_wait_loadcnt_dscnt 0x200
	v_mul_f64_e32 v[4:5], v[207:208], v[186:187]
	v_mul_f64_e32 v[6:7], v[205:206], v[186:187]
	s_delay_alu instid0(VALU_DEP_4) | instskip(NEXT) | instid1(VALU_DEP_4)
	v_fma_f64 v[108:109], v[108:109], v[116:117], -v[0:1]
	v_fma_f64 v[110:111], v[110:111], v[116:117], v[2:3]
	ds_load_b128 v[116:119], v255 offset:6656
	v_fma_f64 v[205:206], v[205:206], v[184:185], -v[4:5]
	v_fma_f64 v[207:208], v[207:208], v[184:185], v[6:7]
	ds_load_b128 v[184:187], v255 offset:8320
	s_wait_loadcnt_dscnt 0x101
	v_mul_f64_e32 v[0:1], v[118:119], v[190:191]
	v_mul_f64_e32 v[2:3], v[116:117], v[190:191]
	s_delay_alu instid0(VALU_DEP_2) | instskip(NEXT) | instid1(VALU_DEP_2)
	v_fma_f64 v[116:117], v[116:117], v[188:189], -v[0:1]
	v_fma_f64 v[118:119], v[118:119], v[188:189], v[2:3]
	global_load_b128 v[188:191], v255, s[2:3] offset:9984
	s_wait_loadcnt_dscnt 0x100
	v_mul_f64_e32 v[0:1], v[186:187], v[114:115]
	v_mul_f64_e32 v[2:3], v[184:185], v[114:115]
	s_delay_alu instid0(VALU_DEP_2) | instskip(NEXT) | instid1(VALU_DEP_2)
	v_fma_f64 v[184:185], v[184:185], v[112:113], -v[0:1]
	v_fma_f64 v[186:187], v[186:187], v[112:113], v[2:3]
	ds_load_b128 v[112:115], v255 offset:9984
	ds_load_b128 v[209:212], v255 offset:11648
	s_wait_loadcnt_dscnt 0x1
	v_mul_f64_e32 v[0:1], v[114:115], v[190:191]
	v_mul_f64_e32 v[2:3], v[112:113], v[190:191]
	s_delay_alu instid0(VALU_DEP_2) | instskip(NEXT) | instid1(VALU_DEP_2)
	v_fma_f64 v[112:113], v[112:113], v[188:189], -v[0:1]
	v_fma_f64 v[114:115], v[114:115], v[188:189], v[2:3]
	s_clause 0x1
	global_load_b128 v[188:191], v255, s[2:3] offset:11648
	global_load_b128 v[213:216], v255, s[2:3] offset:13312
	s_wait_loadcnt_dscnt 0x100
	v_mul_f64_e32 v[0:1], v[211:212], v[190:191]
	v_mul_f64_e32 v[2:3], v[209:210], v[190:191]
	s_delay_alu instid0(VALU_DEP_2) | instskip(NEXT) | instid1(VALU_DEP_2)
	v_fma_f64 v[209:210], v[209:210], v[188:189], -v[0:1]
	v_fma_f64 v[211:212], v[211:212], v[188:189], v[2:3]
	ds_load_b128 v[188:191], v255 offset:13312
	ds_load_b128 v[217:220], v255 offset:14976
	s_wait_loadcnt_dscnt 0x1
	v_mul_f64_e32 v[0:1], v[190:191], v[215:216]
	v_mul_f64_e32 v[2:3], v[188:189], v[215:216]
	s_delay_alu instid0(VALU_DEP_2) | instskip(NEXT) | instid1(VALU_DEP_2)
	v_fma_f64 v[188:189], v[188:189], v[213:214], -v[0:1]
	v_fma_f64 v[190:191], v[190:191], v[213:214], v[2:3]
	s_clause 0x1
	global_load_b128 v[213:216], v255, s[2:3] offset:14976
	global_load_b128 v[221:224], v255, s[2:3] offset:16640
	ds_load_b128 v[225:228], v255 offset:16640
	ds_load_b128 v[229:232], v255 offset:18304
	s_wait_loadcnt_dscnt 0x102
	v_mul_f64_e32 v[0:1], v[219:220], v[215:216]
	v_mul_f64_e32 v[2:3], v[217:218], v[215:216]
	s_delay_alu instid0(VALU_DEP_2) | instskip(SKIP_2) | instid1(VALU_DEP_3)
	v_fma_f64 v[215:216], v[217:218], v[213:214], -v[0:1]
	s_wait_loadcnt_dscnt 0x1
	v_mul_f64_e32 v[0:1], v[227:228], v[223:224]
	v_fma_f64 v[217:218], v[219:220], v[213:214], v[2:3]
	v_mul_f64_e32 v[2:3], v[225:226], v[223:224]
	s_delay_alu instid0(VALU_DEP_3)
	v_fma_f64 v[219:220], v[225:226], v[221:222], -v[0:1]
	s_clause 0x1
	global_load_b128 v[223:226], v255, s[2:3] offset:18304
	global_load_b128 v[233:236], v255, s[2:3] offset:19968
	v_fma_f64 v[221:222], v[227:228], v[221:222], v[2:3]
	s_wait_loadcnt_dscnt 0x100
	v_mul_f64_e32 v[0:1], v[231:232], v[225:226]
	v_mul_f64_e32 v[2:3], v[229:230], v[225:226]
	s_delay_alu instid0(VALU_DEP_2) | instskip(NEXT) | instid1(VALU_DEP_2)
	v_fma_f64 v[225:226], v[229:230], v[223:224], -v[0:1]
	v_fma_f64 v[227:228], v[231:232], v[223:224], v[2:3]
	ds_load_b128 v[229:232], v255 offset:19968
	ds_load_b128 v[237:240], v255 offset:21632
	s_wait_loadcnt_dscnt 0x1
	v_mul_f64_e32 v[0:1], v[231:232], v[235:236]
	v_mul_f64_e32 v[2:3], v[229:230], v[235:236]
	s_delay_alu instid0(VALU_DEP_2) | instskip(NEXT) | instid1(VALU_DEP_2)
	v_fma_f64 v[229:230], v[229:230], v[233:234], -v[0:1]
	v_fma_f64 v[231:232], v[231:232], v[233:234], v[2:3]
	s_clause 0x1
	global_load_b128 v[233:236], v255, s[2:3] offset:21632
	global_load_b128 v[241:244], v255, s[2:3] offset:23296
	ds_load_b128 v[245:248], v255 offset:23296
	ds_load_b128 v[249:252], v255 offset:24960
	s_wait_loadcnt_dscnt 0x102
	v_mul_f64_e32 v[0:1], v[239:240], v[235:236]
	v_mul_f64_e32 v[2:3], v[237:238], v[235:236]
	s_delay_alu instid0(VALU_DEP_2) | instskip(SKIP_2) | instid1(VALU_DEP_3)
	v_fma_f64 v[235:236], v[237:238], v[233:234], -v[0:1]
	s_wait_loadcnt_dscnt 0x1
	v_mul_f64_e32 v[0:1], v[247:248], v[243:244]
	v_fma_f64 v[237:238], v[239:240], v[233:234], v[2:3]
	v_mul_f64_e32 v[2:3], v[245:246], v[243:244]
	s_delay_alu instid0(VALU_DEP_3)
	v_fma_f64 v[239:240], v[245:246], v[241:242], -v[0:1]
	s_clause 0x1
	global_load_b128 v[243:246], v255, s[2:3] offset:24960
	global_load_b128 v[20:23], v255, s[2:3] offset:26624
	v_fma_f64 v[241:242], v[247:248], v[241:242], v[2:3]
	s_wait_loadcnt_dscnt 0x100
	v_mul_f64_e32 v[0:1], v[251:252], v[245:246]
	v_mul_f64_e32 v[2:3], v[249:250], v[245:246]
	s_delay_alu instid0(VALU_DEP_2) | instskip(NEXT) | instid1(VALU_DEP_2)
	v_fma_f64 v[245:246], v[249:250], v[243:244], -v[0:1]
	v_fma_f64 v[247:248], v[251:252], v[243:244], v[2:3]
	s_wait_loadcnt 0x0
	v_mul_f64_e32 v[0:1], v[203:204], v[22:23]
	v_mul_f64_e32 v[2:3], v[201:202], v[22:23]
	s_delay_alu instid0(VALU_DEP_2) | instskip(NEXT) | instid1(VALU_DEP_2)
	v_fma_f64 v[201:202], v[201:202], v[20:21], -v[0:1]
	v_fma_f64 v[203:204], v[203:204], v[20:21], v[2:3]
	ds_store_b128 v255, v[193:196]
	ds_store_b128 v255, v[197:200] offset:1664
	ds_store_b128 v255, v[108:111] offset:3328
	;; [unrolled: 1-line block ×16, first 2 shown]
.LBB0_13:
	s_wait_alu 0xfffe
	s_or_b32 exec_lo, exec_lo, s1
	global_wb scope:SCOPE_SE
	s_wait_dscnt 0x0
	s_barrier_signal -1
	s_barrier_wait -1
	global_inv scope:SCOPE_SE
	s_and_saveexec_b32 s1, vcc_lo
	s_cbranch_execz .LBB0_15
; %bb.14:
	ds_load_b128 v[120:123], v255
	ds_load_b128 v[136:139], v255 offset:1664
	ds_load_b128 v[140:143], v255 offset:3328
	;; [unrolled: 1-line block ×16, first 2 shown]
	s_wait_dscnt 0x0
	scratch_store_b128 off, v[0:3], off offset:12 ; 16-byte Folded Spill
.LBB0_15:
	s_wait_alu 0xfffe
	s_or_b32 exec_lo, exec_lo, s1
	scratch_load_b128 v[6:9], off, off offset:12 ; 16-byte Folded Reload
	s_mov_b32 s10, 0x2a9d6da3
	s_mov_b32 s11, 0xbfe58eea
	v_add_f64_e64 v[190:191], v[142:143], -v[126:127]
	s_mov_b32 s2, 0x75d4884
	s_mov_b32 s16, 0xeb564b22
	;; [unrolled: 1-line block ×4, first 2 shown]
	v_add_f64_e32 v[184:185], v[140:141], v[124:125]
	s_mov_b32 s8, 0x3259b75e
	s_mov_b32 s9, 0x3fb79ee6
	v_add_f64_e32 v[186:187], v[142:143], v[126:127]
	v_add_f64_e64 v[199:200], v[140:141], -v[124:125]
	v_add_f64_e64 v[197:198], v[154:155], -v[130:131]
	s_mov_b32 s20, 0x6c9a05f6
	s_mov_b32 s21, 0xbfe9895b
	v_add_f64_e32 v[188:189], v[128:129], v[152:153]
	v_add_f64_e32 v[193:194], v[130:131], v[154:155]
	s_mov_b32 s18, 0x6ed5f1bb
	s_mov_b32 s19, 0xbfe348c8
	v_add_f64_e64 v[207:208], v[152:153], -v[128:129]
	v_add_f64_e64 v[205:206], v[150:151], -v[134:135]
	s_mov_b32 s26, 0xacd6c6b4
	s_mov_b32 s27, 0xbfc7851a
	v_add_f64_e32 v[195:196], v[132:133], v[148:149]
	v_add_f64_e32 v[201:202], v[134:135], v[150:151]
	s_mov_b32 s22, 0x7faef3
	s_mov_b32 s23, 0xbfef7484
	;; [unrolled: 8-line block ×3, first 2 shown]
	v_add_f64_e64 v[229:230], v[156:157], -v[144:145]
	v_add_f64_e64 v[227:228], v[162:163], -v[170:171]
	s_mov_b32 s40, 0x923c349f
	s_mov_b32 s41, 0x3feec746
	v_add_f64_e32 v[211:212], v[168:169], v[160:161]
	s_wait_alu 0xfffe
	v_mul_f64_e32 v[24:25], s[16:17], v[190:191]
	v_add_f64_e32 v[219:220], v[170:171], v[162:163]
	s_mov_b32 s28, 0xc61f0d01
	s_mov_b32 s29, 0xbfd183b1
	v_add_f64_e64 v[237:238], v[160:161], -v[168:169]
	v_add_f64_e64 v[239:240], v[166:167], -v[174:175]
	s_mov_b32 s38, 0x7c9e640b
	s_mov_b32 s39, 0xbfeca52d
	v_mul_f64_e32 v[26:27], s[8:9], v[186:187]
	s_mov_b32 s51, 0x3feca52d
	v_mul_f64_e32 v[28:29], s[20:21], v[197:198]
	s_wait_alu 0xfffe
	s_mov_b32 s50, s38
	v_add_f64_e32 v[221:222], v[164:165], v[172:173]
	v_add_f64_e32 v[223:224], v[166:167], v[174:175]
	v_mul_f64_e32 v[30:31], s[18:19], v[193:194]
	s_mov_b32 s34, 0x2b2883cd
	s_mov_b32 s35, 0x3fdc86fa
	v_add_f64_e64 v[241:242], v[164:165], -v[172:173]
	v_mul_f64_e32 v[64:65], s[26:27], v[205:206]
	v_add_f64_e64 v[243:244], v[178:179], -v[182:183]
	s_mov_b32 s48, 0x5d8e7cdc
	s_mov_b32 s49, 0x3fd71e95
	v_mul_f64_e32 v[68:69], s[22:23], v[201:202]
	v_add_f64_e32 v[225:226], v[176:177], v[180:181]
	v_add_f64_e32 v[231:232], v[178:179], v[182:183]
	s_mov_b32 s36, 0x370991
	v_mul_f64_e32 v[66:67], s[30:31], v[213:214]
	s_mov_b32 s37, 0x3fedd6d0
	v_add_f64_e64 v[245:246], v[176:177], -v[180:181]
	v_mul_f64_e32 v[84:85], s[20:21], v[190:191]
	v_mul_f64_e32 v[72:73], s[24:25], v[209:210]
	;; [unrolled: 1-line block ×3, first 2 shown]
	s_mov_b32 s55, 0x3fc7851a
	s_mov_b32 s54, s26
	v_mul_f64_e32 v[70:71], s[40:41], v[227:228]
	s_wait_alu 0xfffe
	v_mul_f64_e32 v[114:115], s[54:55], v[197:198]
	v_mul_f64_e32 v[36:37], s[22:23], v[193:194]
	;; [unrolled: 1-line block ×3, first 2 shown]
	v_fma_f64 v[2:3], v[184:185], s[8:9], -v[24:25]
	v_mul_f64_e32 v[78:79], s[28:29], v[219:220]
	v_mul_f64_e32 v[48:49], s[28:29], v[201:202]
	s_mov_b32 s45, 0x3fe58eea
	s_mov_b32 s44, s10
	v_mul_f64_e32 v[74:75], s[50:51], v[239:240]
	s_wait_alu 0xfffe
	v_mul_f64_e32 v[46:47], s[44:45], v[213:214]
	v_mul_f64_e32 v[56:57], s[2:3], v[209:210]
	v_fma_f64 v[4:5], v[199:200], s[16:17], v[26:27]
	s_mov_b32 s43, 0xbfd71e95
	s_mov_b32 s42, s48
	v_mul_f64_e32 v[54:55], s[36:37], v[219:220]
	s_wait_alu 0xfffe
	v_mul_f64_e32 v[44:45], s[42:43], v[227:228]
	v_mul_f64_e32 v[88:89], s[34:35], v[223:224]
	;; [unrolled: 1-line block ×4, first 2 shown]
	s_mov_b32 s47, 0xbfe0d888
	s_mov_b32 s46, s30
	v_mul_f64_e32 v[76:77], s[26:27], v[190:191]
	v_mul_f64_e32 v[82:83], s[48:49], v[243:244]
	s_wait_alu 0xfffe
	v_mul_f64_e32 v[42:43], s[46:47], v[243:244]
	v_mul_f64_e32 v[86:87], s[22:23], v[186:187]
	v_mul_f64_e32 v[80:81], s[40:41], v[197:198]
	v_mul_f64_e32 v[110:111], s[28:29], v[193:194]
	v_mul_f64_e32 v[22:23], s[36:37], v[231:232]
	v_mul_f64_e32 v[52:53], s[24:25], v[231:232]
	v_mul_f64_e32 v[90:91], s[48:49], v[205:206]
	v_mul_f64_e32 v[20:21], s[36:37], v[201:202]
	v_mul_f64_e32 v[116:117], s[38:39], v[213:214]
	v_mul_f64_e32 v[38:39], s[34:35], v[209:210]
	v_mul_f64_e32 v[94:95], s[46:47], v[227:228]
	v_mul_f64_e32 v[14:15], s[24:25], v[219:220]
	s_mov_b32 s53, 0x3fe9895b
	s_mov_b32 s52, s20
	v_mul_f64_e32 v[18:19], s[18:19], v[223:224]
	s_wait_alu 0xfffe
	v_mul_f64_e32 v[108:109], s[52:53], v[239:240]
	v_mul_f64_e32 v[92:93], s[44:45], v[243:244]
	;; [unrolled: 1-line block ×3, first 2 shown]
	s_wait_loadcnt 0x0
	v_add_f64_e64 v[249:250], v[138:139], -v[8:9]
	v_add_f64_e32 v[247:248], v[6:7], v[136:137]
	v_add_f64_e32 v[217:218], v[8:9], v[138:139]
	v_add_f64_e64 v[253:254], v[136:137], -v[6:7]
	s_delay_alu instid0(VALU_DEP_4) | instskip(SKIP_1) | instid1(VALU_DEP_4)
	v_mul_f64_e32 v[16:17], s[10:11], v[249:250]
	v_mul_f64_e32 v[58:59], s[38:39], v[249:250]
	;; [unrolled: 1-line block ×6, first 2 shown]
	v_fma_f64 v[0:1], v[247:248], s[2:3], -v[16:17]
	s_delay_alu instid0(VALU_DEP_1) | instskip(NEXT) | instid1(VALU_DEP_1)
	v_add_f64_e32 v[0:1], v[120:121], v[0:1]
	v_add_f64_e32 v[0:1], v[2:3], v[0:1]
	v_fma_f64 v[2:3], v[253:254], s[10:11], v[32:33]
	s_delay_alu instid0(VALU_DEP_1) | instskip(NEXT) | instid1(VALU_DEP_1)
	v_add_f64_e32 v[2:3], v[122:123], v[2:3]
	v_add_f64_e32 v[2:3], v[4:5], v[2:3]
	v_fma_f64 v[4:5], v[188:189], s[18:19], -v[28:29]
	s_delay_alu instid0(VALU_DEP_1) | instskip(SKIP_1) | instid1(VALU_DEP_1)
	v_add_f64_e32 v[0:1], v[4:5], v[0:1]
	v_fma_f64 v[4:5], v[207:208], s[20:21], v[30:31]
	v_add_f64_e32 v[2:3], v[4:5], v[2:3]
	v_fma_f64 v[4:5], v[195:196], s[22:23], -v[64:65]
	s_delay_alu instid0(VALU_DEP_1) | instskip(SKIP_1) | instid1(VALU_DEP_1)
	v_add_f64_e32 v[0:1], v[4:5], v[0:1]
	v_fma_f64 v[4:5], v[215:216], s[26:27], v[68:69]
	;; [unrolled: 5-line block ×5, first 2 shown]
	v_add_f64_e32 v[2:3], v[4:5], v[2:3]
	v_fma_f64 v[4:5], v[225:226], s[36:37], -v[82:83]
	s_delay_alu instid0(VALU_DEP_1) | instskip(SKIP_2) | instid1(VALU_DEP_2)
	v_add_f64_e32 v[10:11], v[4:5], v[0:1]
	v_fma_f64 v[0:1], v[245:246], s[48:49], v[22:23]
	v_fma_f64 v[4:5], v[199:200], s[20:21], v[118:119]
	v_add_f64_e32 v[12:13], v[0:1], v[2:3]
	v_fma_f64 v[0:1], v[247:248], s[34:35], -v[58:59]
	v_fma_f64 v[2:3], v[184:185], s[18:19], -v[84:85]
	scratch_store_b128 off, v[10:13], off offset:28 ; 16-byte Folded Spill
	v_add_f64_e32 v[0:1], v[120:121], v[0:1]
	s_delay_alu instid0(VALU_DEP_1) | instskip(SKIP_1) | instid1(VALU_DEP_1)
	v_add_f64_e32 v[0:1], v[2:3], v[0:1]
	v_fma_f64 v[2:3], v[253:254], s[38:39], v[233:234]
	v_add_f64_e32 v[2:3], v[122:123], v[2:3]
	s_delay_alu instid0(VALU_DEP_1) | instskip(SKIP_1) | instid1(VALU_DEP_1)
	v_add_f64_e32 v[2:3], v[4:5], v[2:3]
	v_fma_f64 v[4:5], v[188:189], s[22:23], -v[114:115]
	v_add_f64_e32 v[0:1], v[4:5], v[0:1]
	v_fma_f64 v[4:5], v[207:208], s[54:55], v[36:37]
	s_delay_alu instid0(VALU_DEP_1) | instskip(SKIP_1) | instid1(VALU_DEP_1)
	v_add_f64_e32 v[2:3], v[4:5], v[2:3]
	v_fma_f64 v[4:5], v[195:196], s[28:29], -v[34:35]
	v_add_f64_e32 v[0:1], v[4:5], v[0:1]
	v_fma_f64 v[4:5], v[215:216], s[40:41], v[48:49]
	;; [unrolled: 5-line block ×6, first 2 shown]
	v_fma_f64 v[4:5], v[199:200], s[26:27], v[86:87]
	s_delay_alu instid0(VALU_DEP_2) | instskip(SKIP_4) | instid1(VALU_DEP_1)
	v_add_f64_e32 v[12:13], v[0:1], v[2:3]
	v_fma_f64 v[0:1], v[247:248], s[8:9], -v[235:236]
	v_fma_f64 v[2:3], v[184:185], s[22:23], -v[76:77]
	scratch_store_b128 off, v[10:13], off offset:44 ; 16-byte Folded Spill
	v_add_f64_e32 v[0:1], v[120:121], v[0:1]
	v_add_f64_e32 v[0:1], v[2:3], v[0:1]
	v_fma_f64 v[2:3], v[253:254], s[16:17], v[251:252]
	s_delay_alu instid0(VALU_DEP_1) | instskip(NEXT) | instid1(VALU_DEP_1)
	v_add_f64_e32 v[2:3], v[122:123], v[2:3]
	v_add_f64_e32 v[2:3], v[4:5], v[2:3]
	v_fma_f64 v[4:5], v[188:189], s[28:29], -v[80:81]
	s_delay_alu instid0(VALU_DEP_1) | instskip(SKIP_1) | instid1(VALU_DEP_1)
	v_add_f64_e32 v[0:1], v[4:5], v[0:1]
	v_fma_f64 v[4:5], v[207:208], s[40:41], v[110:111]
	v_add_f64_e32 v[2:3], v[4:5], v[2:3]
	v_fma_f64 v[4:5], v[195:196], s[36:37], -v[90:91]
	s_delay_alu instid0(VALU_DEP_1) | instskip(SKIP_1) | instid1(VALU_DEP_1)
	v_add_f64_e32 v[0:1], v[4:5], v[0:1]
	v_fma_f64 v[4:5], v[215:216], s[48:49], v[20:21]
	;; [unrolled: 5-line block ×6, first 2 shown]
	v_add_f64_e32 v[12:13], v[0:1], v[2:3]
	scratch_store_b128 off, v[10:13], off offset:60 ; 16-byte Folded Spill
	global_wb scope:SCOPE_SE
	s_wait_storecnt 0x0
	s_barrier_signal -1
	s_barrier_wait -1
	global_inv scope:SCOPE_SE
	s_and_saveexec_b32 s1, vcc_lo
	s_cbranch_execz .LBB0_17
; %bb.16:
	v_add_f64_e32 v[0:1], v[122:123], v[138:139]
	v_add_f64_e32 v[2:3], v[120:121], v[136:137]
	v_mul_f64_e32 v[12:13], s[10:11], v[253:254]
	s_mov_b32 s57, 0xbfeec746
	s_mov_b32 s56, s40
	v_mul_f64_e32 v[10:11], s[34:35], v[247:248]
	v_mul_f64_e32 v[136:137], s[50:51], v[237:238]
	;; [unrolled: 1-line block ×3, first 2 shown]
	s_mov_b32 s59, 0x3fefdd0d
	s_mov_b32 s58, s16
	v_add_f64_e32 v[0:1], v[142:143], v[0:1]
	v_add_f64_e32 v[2:3], v[140:141], v[2:3]
	v_add_f64_e64 v[12:13], v[32:33], -v[12:13]
	s_wait_alu 0xfffe
	v_mul_f64_e32 v[32:33], s[56:57], v[253:254]
	v_mul_f64_e32 v[140:141], s[56:57], v[241:242]
	v_add_f64_e32 v[10:11], v[10:11], v[58:59]
	v_mul_f64_e32 v[142:143], s[56:57], v[239:240]
	v_add_f64_e32 v[0:1], v[154:155], v[0:1]
	v_add_f64_e32 v[2:3], v[152:153], v[2:3]
	;; [unrolled: 1-line block ×3, first 2 shown]
	v_mul_f64_e32 v[154:155], s[26:27], v[239:240]
	v_add_f64_e32 v[10:11], v[120:121], v[10:11]
	v_add_f64_e32 v[0:1], v[150:151], v[0:1]
	v_add_f64_e32 v[2:3], v[148:149], v[2:3]
	v_mul_f64_e32 v[148:149], s[10:11], v[227:228]
	v_mul_f64_e32 v[150:151], s[26:27], v[241:242]
	s_delay_alu instid0(VALU_DEP_4) | instskip(NEXT) | instid1(VALU_DEP_4)
	v_add_f64_e32 v[0:1], v[158:159], v[0:1]
	v_add_f64_e32 v[2:3], v[156:157], v[2:3]
	v_mul_f64_e32 v[158:159], s[50:51], v[245:246]
	s_delay_alu instid0(VALU_DEP_3) | instskip(NEXT) | instid1(VALU_DEP_3)
	v_add_f64_e32 v[0:1], v[162:163], v[0:1]
	v_add_f64_e32 v[2:3], v[160:161], v[2:3]
	v_dual_mov_b32 v161, v27 :: v_dual_mov_b32 v160, v26
	v_dual_mov_b32 v26, v52 :: v_dual_mov_b32 v27, v53
	v_mul_f64_e32 v[52:53], s[56:57], v[249:250]
	v_dual_mov_b32 v163, v29 :: v_dual_mov_b32 v162, v28
	v_dual_mov_b32 v28, v56 :: v_dual_mov_b32 v29, v57
	v_add_f64_e32 v[0:1], v[166:167], v[0:1]
	v_add_f64_e32 v[2:3], v[164:165], v[2:3]
	v_dual_mov_b32 v167, v25 :: v_dual_mov_b32 v166, v24
	v_dual_mov_b32 v24, v50 :: v_dual_mov_b32 v25, v51
	v_mul_f64_e32 v[50:51], s[42:43], v[249:250]
	v_add_f64_e32 v[0:1], v[178:179], v[0:1]
	v_add_f64_e32 v[2:3], v[176:177], v[2:3]
	v_dual_mov_b32 v177, v23 :: v_dual_mov_b32 v176, v22
	v_mul_f64_e32 v[22:23], s[42:43], v[253:254]
	v_dual_mov_b32 v179, v35 :: v_dual_mov_b32 v178, v34
	v_add_f64_e32 v[0:1], v[182:183], v[0:1]
	v_add_f64_e32 v[2:3], v[180:181], v[2:3]
	v_dual_mov_b32 v183, v39 :: v_dual_mov_b32 v182, v38
	v_dual_mov_b32 v181, v37 :: v_dual_mov_b32 v180, v36
	s_delay_alu instid0(VALU_DEP_4) | instskip(NEXT) | instid1(VALU_DEP_4)
	v_add_f64_e32 v[0:1], v[174:175], v[0:1]
	v_add_f64_e32 v[2:3], v[172:173], v[2:3]
	v_dual_mov_b32 v175, v21 :: v_dual_mov_b32 v174, v20
	v_mul_f64_e32 v[20:21], s[20:21], v[253:254]
	v_dual_mov_b32 v173, v19 :: v_dual_mov_b32 v172, v18
	v_mul_f64_e32 v[18:19], s[46:47], v[253:254]
	v_add_f64_e32 v[0:1], v[170:171], v[0:1]
	v_add_f64_e32 v[2:3], v[168:169], v[2:3]
	v_dual_mov_b32 v171, v15 :: v_dual_mov_b32 v170, v14
	v_mul_f64_e32 v[14:15], s[2:3], v[247:248]
	v_fma_f64 v[38:39], v[217:218], s[18:19], v[20:21]
	v_fma_f64 v[20:21], v[217:218], s[18:19], -v[20:21]
	v_fma_f64 v[36:37], v[217:218], s[24:25], v[18:19]
	v_fma_f64 v[18:19], v[217:218], s[24:25], -v[18:19]
	v_mul_f64_e32 v[168:169], s[40:41], v[237:238]
	v_add_f64_e32 v[0:1], v[146:147], v[0:1]
	v_add_f64_e32 v[2:3], v[144:145], v[2:3]
	v_mul_f64_e32 v[146:147], s[58:59], v[245:246]
	v_add_f64_e32 v[14:15], v[14:15], v[16:17]
	v_mul_f64_e32 v[16:17], s[26:27], v[253:254]
	;; [unrolled: 2-line block ×3, first 2 shown]
	v_add_f64_e32 v[36:37], v[122:123], v[36:37]
	v_add_f64_e32 v[18:19], v[122:123], v[18:19]
	;; [unrolled: 1-line block ×3, first 2 shown]
	v_add_f64_e64 v[168:169], v[78:79], -v[168:169]
	v_add_f64_e32 v[0:1], v[134:135], v[0:1]
	v_add_f64_e32 v[2:3], v[132:133], v[2:3]
	v_mul_f64_e32 v[132:133], s[20:21], v[229:230]
	v_mul_f64_e32 v[134:135], s[20:21], v[213:214]
	v_add_f64_e32 v[14:15], v[120:121], v[14:15]
	v_fma_f64 v[34:35], v[217:218], s[22:23], v[16:17]
	v_fma_f64 v[16:17], v[217:218], s[22:23], -v[16:17]
	v_add_f64_e32 v[0:1], v[130:131], v[0:1]
	v_add_f64_e32 v[2:3], v[128:129], v[2:3]
	v_mul_f64_e32 v[128:129], s[44:45], v[215:216]
	v_mul_f64_e32 v[130:131], s[44:45], v[205:206]
	v_add_f64_e32 v[34:35], v[122:123], v[34:35]
	v_add_f64_e32 v[16:17], v[122:123], v[16:17]
	v_add_f64_e32 v[0:1], v[126:127], v[0:1]
	v_add_f64_e32 v[4:5], v[124:125], v[2:3]
	v_fma_f64 v[124:125], v[247:248], s[36:37], -v[50:51]
	v_fma_f64 v[50:51], v[247:248], s[36:37], v[50:51]
	v_fma_f64 v[126:127], v[247:248], s[28:29], -v[52:53]
	v_fma_f64 v[52:53], v[247:248], s[28:29], v[52:53]
	v_add_f64_e32 v[2:3], v[8:9], v[0:1]
	v_mul_f64_e32 v[8:9], s[38:39], v[253:254]
	v_add_f64_e32 v[0:1], v[6:7], v[4:5]
	v_mul_f64_e32 v[4:5], s[16:17], v[253:254]
	v_mul_f64_e32 v[6:7], s[8:9], v[247:248]
	v_dual_mov_b32 v254, v49 :: v_dual_mov_b32 v253, v48
	v_mul_f64_e32 v[48:49], s[20:21], v[249:250]
	v_add_f64_e32 v[164:165], v[120:121], v[124:125]
	v_add_f64_e32 v[50:51], v[120:121], v[50:51]
	;; [unrolled: 1-line block ×4, first 2 shown]
	v_mul_f64_e32 v[124:125], s[46:47], v[207:208]
	v_mul_f64_e32 v[126:127], s[46:47], v[197:198]
	v_add_f64_e64 v[8:9], v[233:234], -v[8:9]
	v_dual_mov_b32 v234, v41 :: v_dual_mov_b32 v233, v40
	v_fma_f64 v[40:41], v[217:218], s[36:37], v[22:23]
	v_fma_f64 v[22:23], v[217:218], s[36:37], -v[22:23]
	v_add_f64_e64 v[4:5], v[251:252], -v[4:5]
	v_add_f64_e32 v[6:7], v[6:7], v[235:236]
	v_dual_mov_b32 v236, v43 :: v_dual_mov_b32 v235, v42
	v_fma_f64 v[42:43], v[217:218], s[28:29], v[32:33]
	v_fma_f64 v[32:33], v[217:218], s[28:29], -v[32:33]
	v_dual_mov_b32 v218, v45 :: v_dual_mov_b32 v217, v44
	v_mul_f64_e32 v[44:45], s[26:27], v[249:250]
	v_dual_mov_b32 v252, v47 :: v_dual_mov_b32 v251, v46
	v_mul_f64_e32 v[46:47], s[46:47], v[249:250]
	v_dual_mov_b32 v250, v55 :: v_dual_mov_b32 v249, v54
	v_fma_f64 v[58:59], v[247:248], s[18:19], -v[48:49]
	v_fma_f64 v[48:49], v[247:248], s[18:19], v[48:49]
	v_add_f64_e32 v[8:9], v[122:123], v[8:9]
	v_add_f64_e32 v[40:41], v[122:123], v[40:41]
	;; [unrolled: 1-line block ×3, first 2 shown]
	v_fma_f64 v[22:23], v[186:187], s[36:37], v[20:21]
	v_add_f64_e32 v[6:7], v[120:121], v[6:7]
	v_fma_f64 v[20:21], v[186:187], s[36:37], -v[20:21]
	v_add_f64_e32 v[4:5], v[122:123], v[4:5]
	v_add_f64_e32 v[42:43], v[122:123], v[42:43]
	;; [unrolled: 1-line block ×3, first 2 shown]
	v_fma_f64 v[54:55], v[247:248], s[22:23], -v[44:45]
	v_fma_f64 v[44:45], v[247:248], s[22:23], v[44:45]
	v_fma_f64 v[56:57], v[247:248], s[24:25], -v[46:47]
	v_fma_f64 v[46:47], v[247:248], s[24:25], v[46:47]
	v_add_f64_e32 v[58:59], v[120:121], v[58:59]
	v_add_f64_e32 v[48:49], v[120:121], v[48:49]
	;; [unrolled: 1-line block ×3, first 2 shown]
	v_mul_f64_e32 v[34:35], s[48:49], v[190:191]
	v_add_f64_e32 v[16:17], v[20:21], v[16:17]
	v_add_f64_e32 v[54:55], v[120:121], v[54:55]
	;; [unrolled: 1-line block ×5, first 2 shown]
	v_fma_f64 v[120:121], v[184:185], s[36:37], -v[34:35]
	v_fma_f64 v[20:21], v[184:185], s[36:37], v[34:35]
	v_fma_f64 v[34:35], v[193:194], s[24:25], -v[124:125]
	s_delay_alu instid0(VALU_DEP_3) | instskip(SKIP_1) | instid1(VALU_DEP_4)
	v_add_f64_e32 v[54:55], v[120:121], v[54:55]
	v_fma_f64 v[120:121], v[193:194], s[24:25], v[124:125]
	v_add_f64_e32 v[20:21], v[20:21], v[44:45]
	s_delay_alu instid0(VALU_DEP_4) | instskip(SKIP_1) | instid1(VALU_DEP_4)
	v_add_f64_e32 v[16:17], v[34:35], v[16:17]
	v_fma_f64 v[34:35], v[188:189], s[24:25], v[126:127]
	v_add_f64_e32 v[22:23], v[120:121], v[22:23]
	v_fma_f64 v[120:121], v[188:189], s[24:25], -v[126:127]
	s_delay_alu instid0(VALU_DEP_3) | instskip(SKIP_1) | instid1(VALU_DEP_3)
	v_add_f64_e32 v[20:21], v[34:35], v[20:21]
	v_fma_f64 v[34:35], v[201:202], s[2:3], -v[128:129]
	v_add_f64_e32 v[54:55], v[120:121], v[54:55]
	v_fma_f64 v[120:121], v[201:202], s[2:3], v[128:129]
	s_delay_alu instid0(VALU_DEP_3) | instskip(SKIP_1) | instid1(VALU_DEP_3)
	v_add_f64_e32 v[16:17], v[34:35], v[16:17]
	v_fma_f64 v[34:35], v[195:196], s[2:3], v[130:131]
	v_add_f64_e32 v[22:23], v[120:121], v[22:23]
	v_fma_f64 v[120:121], v[195:196], s[2:3], -v[130:131]
	s_delay_alu instid0(VALU_DEP_3) | instskip(SKIP_1) | instid1(VALU_DEP_3)
	v_add_f64_e32 v[20:21], v[34:35], v[20:21]
	v_fma_f64 v[34:35], v[209:210], s[18:19], -v[132:133]
	v_add_f64_e32 v[54:55], v[120:121], v[54:55]
	v_fma_f64 v[120:121], v[209:210], s[18:19], v[132:133]
	s_delay_alu instid0(VALU_DEP_3) | instskip(SKIP_1) | instid1(VALU_DEP_3)
	;; [unrolled: 10-line block ×4, first 2 shown]
	v_add_f64_e32 v[16:17], v[34:35], v[16:17]
	v_fma_f64 v[34:35], v[221:222], s[28:29], v[142:143]
	v_add_f64_e32 v[22:23], v[120:121], v[22:23]
	v_fma_f64 v[120:121], v[221:222], s[28:29], -v[142:143]
	v_mul_f64_e32 v[142:143], s[56:57], v[245:246]
	s_delay_alu instid0(VALU_DEP_4) | instskip(SKIP_1) | instid1(VALU_DEP_4)
	v_add_f64_e32 v[20:21], v[34:35], v[20:21]
	v_fma_f64 v[34:35], v[231:232], s[8:9], -v[146:147]
	v_add_f64_e32 v[54:55], v[120:121], v[54:55]
	v_fma_f64 v[120:121], v[231:232], s[8:9], v[146:147]
	v_mul_f64_e32 v[146:147], s[56:57], v[243:244]
	s_delay_alu instid0(VALU_DEP_4) | instskip(SKIP_4) | instid1(VALU_DEP_1)
	v_add_f64_e32 v[126:127], v[34:35], v[16:17]
	v_mul_f64_e32 v[16:17], s[50:51], v[199:200]
	v_mul_f64_e32 v[34:35], s[50:51], v[190:191]
	v_add_f64_e32 v[122:123], v[120:121], v[22:23]
	v_mul_f64_e32 v[22:23], s[58:59], v[243:244]
	v_fma_f64 v[120:121], v[225:226], s[8:9], -v[22:23]
	v_fma_f64 v[22:23], v[225:226], s[8:9], v[22:23]
	s_delay_alu instid0(VALU_DEP_2) | instskip(NEXT) | instid1(VALU_DEP_2)
	v_add_f64_e32 v[120:121], v[120:121], v[54:55]
	v_add_f64_e32 v[124:125], v[22:23], v[20:21]
	v_fma_f64 v[20:21], v[186:187], s[34:35], v[16:17]
	v_fma_f64 v[22:23], v[184:185], s[34:35], -v[34:35]
	v_fma_f64 v[16:17], v[186:187], s[34:35], -v[16:17]
	s_delay_alu instid0(VALU_DEP_3) | instskip(SKIP_1) | instid1(VALU_DEP_4)
	v_add_f64_e32 v[20:21], v[20:21], v[36:37]
	v_mul_f64_e32 v[36:37], s[16:17], v[207:208]
	v_add_f64_e32 v[22:23], v[22:23], v[56:57]
	s_delay_alu instid0(VALU_DEP_4) | instskip(SKIP_1) | instid1(VALU_DEP_4)
	v_add_f64_e32 v[16:17], v[16:17], v[18:19]
	v_fma_f64 v[18:19], v[184:185], s[34:35], v[34:35]
	v_fma_f64 v[44:45], v[193:194], s[8:9], v[36:37]
	v_fma_f64 v[34:35], v[193:194], s[8:9], -v[36:37]
	v_fma_f64 v[36:37], v[225:226], s[28:29], v[146:147]
	s_delay_alu instid0(VALU_DEP_4) | instskip(NEXT) | instid1(VALU_DEP_4)
	v_add_f64_e32 v[18:19], v[18:19], v[46:47]
	v_add_f64_e32 v[20:21], v[44:45], v[20:21]
	v_mul_f64_e32 v[44:45], s[16:17], v[197:198]
	v_add_f64_e32 v[16:17], v[34:35], v[16:17]
	s_delay_alu instid0(VALU_DEP_2) | instskip(SKIP_1) | instid1(VALU_DEP_2)
	v_fma_f64 v[54:55], v[188:189], s[8:9], -v[44:45]
	v_fma_f64 v[34:35], v[188:189], s[8:9], v[44:45]
	v_add_f64_e32 v[22:23], v[54:55], v[22:23]
	v_mul_f64_e32 v[54:55], s[52:53], v[215:216]
	s_delay_alu instid0(VALU_DEP_3) | instskip(NEXT) | instid1(VALU_DEP_2)
	v_add_f64_e32 v[18:19], v[34:35], v[18:19]
	v_fma_f64 v[56:57], v[201:202], s[18:19], v[54:55]
	v_fma_f64 v[34:35], v[201:202], s[18:19], -v[54:55]
	s_delay_alu instid0(VALU_DEP_2) | instskip(SKIP_1) | instid1(VALU_DEP_3)
	v_add_f64_e32 v[20:21], v[56:57], v[20:21]
	v_mul_f64_e32 v[56:57], s[52:53], v[205:206]
	v_add_f64_e32 v[16:17], v[34:35], v[16:17]
	s_delay_alu instid0(VALU_DEP_2) | instskip(SKIP_1) | instid1(VALU_DEP_2)
	v_fma_f64 v[128:129], v[195:196], s[18:19], -v[56:57]
	v_fma_f64 v[34:35], v[195:196], s[18:19], v[56:57]
	v_add_f64_e32 v[22:23], v[128:129], v[22:23]
	v_mul_f64_e32 v[128:129], s[42:43], v[229:230]
	s_delay_alu instid0(VALU_DEP_3) | instskip(NEXT) | instid1(VALU_DEP_2)
	v_add_f64_e32 v[18:19], v[34:35], v[18:19]
	v_fma_f64 v[130:131], v[209:210], s[36:37], v[128:129]
	v_fma_f64 v[34:35], v[209:210], s[36:37], -v[128:129]
	s_delay_alu instid0(VALU_DEP_2) | instskip(SKIP_1) | instid1(VALU_DEP_3)
	;; [unrolled: 13-line block ×3, first 2 shown]
	v_add_f64_e32 v[20:21], v[134:135], v[20:21]
	v_mul_f64_e32 v[134:135], s[26:27], v[227:228]
	v_add_f64_e32 v[16:17], v[34:35], v[16:17]
	s_delay_alu instid0(VALU_DEP_2) | instskip(SKIP_1) | instid1(VALU_DEP_2)
	v_fma_f64 v[136:137], v[211:212], s[22:23], -v[134:135]
	v_fma_f64 v[34:35], v[211:212], s[22:23], v[134:135]
	v_add_f64_e32 v[22:23], v[136:137], v[22:23]
	v_mul_f64_e32 v[136:137], s[44:45], v[241:242]
	s_delay_alu instid0(VALU_DEP_3) | instskip(NEXT) | instid1(VALU_DEP_2)
	v_add_f64_e32 v[18:19], v[34:35], v[18:19]
	v_fma_f64 v[138:139], v[223:224], s[2:3], v[136:137]
	v_fma_f64 v[34:35], v[223:224], s[2:3], -v[136:137]
	v_mul_f64_e32 v[136:137], s[26:27], v[215:216]
	s_delay_alu instid0(VALU_DEP_3) | instskip(SKIP_1) | instid1(VALU_DEP_4)
	v_add_f64_e32 v[20:21], v[138:139], v[20:21]
	v_mul_f64_e32 v[138:139], s[44:45], v[239:240]
	v_add_f64_e32 v[16:17], v[34:35], v[16:17]
	s_delay_alu instid0(VALU_DEP_4) | instskip(NEXT) | instid1(VALU_DEP_3)
	v_add_f64_e64 v[136:137], v[68:69], -v[136:137]
	v_fma_f64 v[34:35], v[221:222], s[2:3], v[138:139]
	v_fma_f64 v[140:141], v[221:222], s[2:3], -v[138:139]
	v_mul_f64_e32 v[138:139], s[20:21], v[207:208]
	s_delay_alu instid0(VALU_DEP_3) | instskip(SKIP_1) | instid1(VALU_DEP_4)
	v_add_f64_e32 v[18:19], v[34:35], v[18:19]
	v_fma_f64 v[34:35], v[231:232], s[28:29], -v[142:143]
	v_add_f64_e32 v[140:141], v[140:141], v[22:23]
	v_fma_f64 v[22:23], v[231:232], s[28:29], v[142:143]
	v_mul_f64_e32 v[142:143], s[22:23], v[195:196]
	v_add_f64_e64 v[138:139], v[30:31], -v[138:139]
	v_add_f64_e32 v[128:129], v[36:37], v[18:19]
	v_add_f64_e32 v[130:131], v[34:35], v[16:17]
	v_mul_f64_e32 v[16:17], s[40:41], v[199:200]
	v_mul_f64_e32 v[34:35], s[40:41], v[190:191]
	v_add_f64_e32 v[22:23], v[22:23], v[20:21]
	v_fma_f64 v[20:21], v[225:226], s[28:29], -v[146:147]
	v_mul_f64_e32 v[146:147], s[10:11], v[237:238]
	v_add_f64_e32 v[142:143], v[142:143], v[64:65]
	v_fma_f64 v[18:19], v[186:187], s[28:29], v[16:17]
	v_fma_f64 v[36:37], v[184:185], s[28:29], -v[34:35]
	v_add_f64_e32 v[20:21], v[20:21], v[140:141]
	v_mul_f64_e32 v[140:141], s[16:17], v[199:200]
	s_delay_alu instid0(VALU_DEP_4) | instskip(SKIP_2) | instid1(VALU_DEP_4)
	v_add_f64_e32 v[18:19], v[18:19], v[38:39]
	v_mul_f64_e32 v[38:39], s[42:43], v[207:208]
	v_add_f64_e32 v[36:37], v[36:37], v[58:59]
	v_add_f64_e64 v[140:141], v[160:161], -v[140:141]
	v_mul_f64_e32 v[160:161], s[18:19], v[188:189]
	s_delay_alu instid0(VALU_DEP_4) | instskip(NEXT) | instid1(VALU_DEP_3)
	v_fma_f64 v[44:45], v[193:194], s[36:37], v[38:39]
	v_add_f64_e32 v[12:13], v[140:141], v[12:13]
	s_delay_alu instid0(VALU_DEP_3)
	v_add_f64_e32 v[160:161], v[160:161], v[162:163]
	v_mul_f64_e32 v[162:163], s[8:9], v[184:185]
	v_mul_f64_e32 v[140:141], s[28:29], v[211:212]
	v_add_f64_e32 v[18:19], v[44:45], v[18:19]
	v_mul_f64_e32 v[44:45], s[42:43], v[197:198]
	v_add_f64_e32 v[12:13], v[138:139], v[12:13]
	;; [unrolled: 2-line block ×4, first 2 shown]
	v_fma_f64 v[46:47], v[188:189], s[36:37], -v[44:45]
	v_add_f64_e32 v[12:13], v[136:137], v[12:13]
	v_mul_f64_e32 v[136:137], s[34:35], v[221:222]
	v_add_f64_e32 v[14:15], v[162:163], v[14:15]
	v_add_f64_e32 v[166:167], v[166:167], v[66:67]
	v_add_f64_e64 v[138:139], v[88:89], -v[138:139]
	v_mul_f64_e32 v[162:163], s[22:23], v[188:189]
	v_add_f64_e32 v[36:37], v[46:47], v[36:37]
	v_mul_f64_e32 v[46:47], s[46:47], v[215:216]
	v_add_f64_e32 v[136:137], v[136:137], v[74:75]
	v_add_f64_e32 v[14:15], v[160:161], v[14:15]
	v_mul_f64_e32 v[160:161], s[28:29], v[195:196]
	v_add_f64_e32 v[162:163], v[162:163], v[114:115]
	v_fma_f64 v[54:55], v[201:202], s[24:25], v[46:47]
	s_delay_alu instid0(VALU_DEP_4)
	v_add_f64_e32 v[14:15], v[142:143], v[14:15]
	v_mul_f64_e32 v[142:143], s[2:3], v[203:204]
	v_add_f64_e32 v[160:161], v[160:161], v[178:179]
	v_mul_f64_e32 v[178:179], s[42:43], v[239:240]
	;; [unrolled: 2-line block ×4, first 2 shown]
	v_add_f64_e32 v[142:143], v[142:143], v[251:252]
	s_delay_alu instid0(VALU_DEP_4) | instskip(NEXT) | instid1(VALU_DEP_4)
	v_fma_f64 v[56:57], v[195:196], s[24:25], -v[54:55]
	v_add_f64_e32 v[14:15], v[140:141], v[14:15]
	v_mul_f64_e32 v[140:141], s[36:37], v[225:226]
	v_add_f64_e32 v[166:167], v[166:167], v[84:85]
	s_delay_alu instid0(VALU_DEP_4)
	v_add_f64_e32 v[36:37], v[56:57], v[36:37]
	v_mul_f64_e32 v[56:57], s[58:59], v[229:230]
	v_add_f64_e32 v[14:15], v[136:137], v[14:15]
	v_add_f64_e32 v[140:141], v[140:141], v[82:83]
	;; [unrolled: 1-line block ×3, first 2 shown]
	v_mul_f64_e32 v[166:167], s[38:39], v[205:206]
	v_fma_f64 v[58:59], v[209:210], s[8:9], v[56:57]
	s_delay_alu instid0(VALU_DEP_4)
	v_add_f64_e32 v[136:137], v[140:141], v[14:15]
	v_mul_f64_e32 v[140:141], s[20:21], v[199:200]
	v_mul_f64_e32 v[14:15], s[40:41], v[215:216]
	v_add_f64_e32 v[10:11], v[162:163], v[10:11]
	v_mul_f64_e32 v[162:163], s[38:39], v[215:216]
	v_add_f64_e32 v[18:19], v[58:59], v[18:19]
	v_mul_f64_e32 v[58:59], s[58:59], v[213:214]
	v_add_f64_e64 v[140:141], v[118:119], -v[140:141]
	v_add_f64_e64 v[14:15], v[253:254], -v[14:15]
	v_add_f64_e32 v[10:11], v[160:161], v[10:11]
	v_mul_f64_e32 v[160:161], s[44:45], v[197:198]
	v_fma_f64 v[132:133], v[203:204], s[8:9], -v[58:59]
	v_add_f64_e32 v[8:9], v[140:141], v[8:9]
	v_mul_f64_e32 v[140:141], s[36:37], v[211:212]
	v_add_f64_e32 v[10:11], v[142:143], v[10:11]
	s_delay_alu instid0(VALU_DEP_4) | instskip(SKIP_1) | instid1(VALU_DEP_4)
	v_add_f64_e32 v[36:37], v[132:133], v[36:37]
	v_fma_f64 v[132:133], v[219:220], s[2:3], v[146:147]
	v_add_f64_e32 v[140:141], v[140:141], v[217:218]
	s_delay_alu instid0(VALU_DEP_2) | instskip(SKIP_1) | instid1(VALU_DEP_3)
	v_add_f64_e32 v[18:19], v[132:133], v[18:19]
	v_fma_f64 v[132:133], v[211:212], s[2:3], -v[148:149]
	v_add_f64_e32 v[10:11], v[140:141], v[10:11]
	v_mul_f64_e32 v[140:141], s[24:25], v[225:226]
	s_delay_alu instid0(VALU_DEP_3) | instskip(SKIP_1) | instid1(VALU_DEP_3)
	v_add_f64_e32 v[36:37], v[132:133], v[36:37]
	v_fma_f64 v[132:133], v[223:224], s[22:23], v[150:151]
	v_add_f64_e32 v[140:141], v[140:141], v[235:236]
	s_delay_alu instid0(VALU_DEP_2) | instskip(SKIP_1) | instid1(VALU_DEP_1)
	v_add_f64_e32 v[18:19], v[132:133], v[18:19]
	v_fma_f64 v[132:133], v[221:222], s[22:23], -v[154:155]
	v_add_f64_e32 v[36:37], v[132:133], v[36:37]
	v_fma_f64 v[132:133], v[231:232], s[34:35], v[158:159]
	s_delay_alu instid0(VALU_DEP_1) | instskip(SKIP_1) | instid1(VALU_DEP_1)
	v_add_f64_e32 v[134:135], v[132:133], v[18:19]
	v_mul_f64_e32 v[18:19], s[50:51], v[243:244]
	v_fma_f64 v[132:133], v[225:226], s[34:35], -v[18:19]
	s_delay_alu instid0(VALU_DEP_1) | instskip(SKIP_1) | instid1(VALU_DEP_1)
	v_add_f64_e32 v[132:133], v[132:133], v[36:37]
	v_mul_f64_e32 v[36:37], s[30:31], v[229:230]
	v_add_f64_e64 v[36:37], v[72:73], -v[36:37]
	s_delay_alu instid0(VALU_DEP_1) | instskip(SKIP_1) | instid1(VALU_DEP_2)
	v_add_f64_e32 v[12:13], v[36:37], v[12:13]
	v_mul_f64_e32 v[36:37], s[48:49], v[245:246]
	v_add_f64_e32 v[12:13], v[168:169], v[12:13]
	s_delay_alu instid0(VALU_DEP_2) | instskip(SKIP_2) | instid1(VALU_DEP_4)
	v_add_f64_e64 v[36:37], v[176:177], -v[36:37]
	v_mul_f64_e32 v[168:169], s[42:43], v[237:238]
	v_mul_f64_e32 v[176:177], s[42:43], v[241:242]
	v_add_f64_e32 v[12:13], v[138:139], v[12:13]
	s_delay_alu instid0(VALU_DEP_3) | instskip(NEXT) | instid1(VALU_DEP_2)
	v_add_f64_e64 v[168:169], v[249:250], -v[168:169]
	v_add_f64_e32 v[138:139], v[36:37], v[12:13]
	v_mul_f64_e32 v[36:37], s[54:55], v[207:208]
	v_mul_f64_e32 v[12:13], s[44:45], v[229:230]
	s_delay_alu instid0(VALU_DEP_2) | instskip(NEXT) | instid1(VALU_DEP_2)
	v_add_f64_e64 v[36:37], v[180:181], -v[36:37]
	v_add_f64_e64 v[12:13], v[28:29], -v[12:13]
	v_mul_f64_e32 v[180:181], s[20:21], v[245:246]
	s_delay_alu instid0(VALU_DEP_3) | instskip(SKIP_1) | instid1(VALU_DEP_2)
	v_add_f64_e32 v[8:9], v[36:37], v[8:9]
	v_mul_f64_e32 v[36:37], s[16:17], v[241:242]
	v_add_f64_e32 v[8:9], v[14:15], v[8:9]
	s_delay_alu instid0(VALU_DEP_2) | instskip(SKIP_1) | instid1(VALU_DEP_3)
	v_add_f64_e64 v[36:37], v[24:25], -v[36:37]
	v_mul_f64_e32 v[14:15], s[8:9], v[221:222]
	v_add_f64_e32 v[8:9], v[12:13], v[8:9]
	v_mul_f64_e32 v[12:13], s[46:47], v[245:246]
	s_delay_alu instid0(VALU_DEP_3) | instskip(NEXT) | instid1(VALU_DEP_3)
	v_add_f64_e32 v[14:15], v[14:15], v[233:234]
	v_add_f64_e32 v[8:9], v[168:169], v[8:9]
	s_delay_alu instid0(VALU_DEP_3) | instskip(NEXT) | instid1(VALU_DEP_3)
	v_add_f64_e64 v[12:13], v[26:27], -v[12:13]
	v_add_f64_e32 v[10:11], v[14:15], v[10:11]
	v_fma_f64 v[14:15], v[225:226], s[34:35], v[18:19]
	v_mul_f64_e32 v[18:19], s[36:37], v[195:196]
	v_mul_f64_e32 v[168:169], s[26:27], v[229:230]
	v_add_f64_e32 v[8:9], v[36:37], v[8:9]
	v_mul_f64_e32 v[36:37], s[22:23], v[184:185]
	v_add_f64_e32 v[140:141], v[140:141], v[10:11]
	v_fma_f64 v[10:11], v[184:185], s[28:29], v[34:35]
	v_mul_f64_e32 v[34:35], s[28:29], v[188:189]
	v_add_f64_e32 v[18:19], v[18:19], v[90:91]
	v_add_f64_e32 v[142:143], v[12:13], v[8:9]
	v_fma_f64 v[8:9], v[186:187], s[28:29], -v[16:17]
	v_fma_f64 v[12:13], v[193:194], s[36:37], -v[38:39]
	v_add_f64_e32 v[10:11], v[10:11], v[48:49]
	v_add_f64_e32 v[36:37], v[36:37], v[76:77]
	;; [unrolled: 1-line block ×3, first 2 shown]
	v_mul_f64_e32 v[16:17], s[34:35], v[203:204]
	v_mul_f64_e32 v[38:39], s[46:47], v[237:238]
	v_add_f64_e32 v[8:9], v[8:9], v[144:145]
	v_add_f64_e32 v[6:7], v[36:37], v[6:7]
	s_delay_alu instid0(VALU_DEP_4) | instskip(NEXT) | instid1(VALU_DEP_4)
	v_add_f64_e32 v[16:17], v[16:17], v[116:117]
	v_add_f64_e64 v[38:39], v[170:171], -v[38:39]
	v_mul_f64_e32 v[170:171], s[26:27], v[213:214]
	v_add_f64_e32 v[8:9], v[12:13], v[8:9]
	v_fma_f64 v[12:13], v[188:189], s[36:37], v[44:45]
	v_add_f64_e32 v[6:7], v[34:35], v[6:7]
	s_delay_alu instid0(VALU_DEP_2) | instskip(SKIP_1) | instid1(VALU_DEP_3)
	v_add_f64_e32 v[10:11], v[12:13], v[10:11]
	v_fma_f64 v[12:13], v[201:202], s[24:25], -v[46:47]
	v_add_f64_e32 v[6:7], v[18:19], v[6:7]
	s_delay_alu instid0(VALU_DEP_2) | instskip(SKIP_1) | instid1(VALU_DEP_3)
	v_add_f64_e32 v[8:9], v[12:13], v[8:9]
	v_fma_f64 v[12:13], v[195:196], s[24:25], v[54:55]
	v_add_f64_e32 v[6:7], v[16:17], v[6:7]
	s_delay_alu instid0(VALU_DEP_2) | instskip(SKIP_1) | instid1(VALU_DEP_1)
	v_add_f64_e32 v[10:11], v[12:13], v[10:11]
	v_fma_f64 v[12:13], v[209:210], s[8:9], -v[56:57]
	v_add_f64_e32 v[8:9], v[12:13], v[8:9]
	v_fma_f64 v[12:13], v[203:204], s[8:9], v[58:59]
	v_mul_f64_e32 v[58:59], s[44:45], v[207:208]
	s_delay_alu instid0(VALU_DEP_2) | instskip(SKIP_1) | instid1(VALU_DEP_1)
	v_add_f64_e32 v[10:11], v[12:13], v[10:11]
	v_fma_f64 v[12:13], v[219:220], s[2:3], -v[146:147]
	v_add_f64_e32 v[8:9], v[12:13], v[8:9]
	v_fma_f64 v[12:13], v[211:212], s[2:3], v[148:149]
	s_delay_alu instid0(VALU_DEP_1) | instskip(SKIP_1) | instid1(VALU_DEP_1)
	v_add_f64_e32 v[10:11], v[12:13], v[10:11]
	v_fma_f64 v[12:13], v[223:224], s[22:23], -v[150:151]
	v_add_f64_e32 v[8:9], v[12:13], v[8:9]
	v_fma_f64 v[12:13], v[221:222], s[22:23], v[154:155]
	s_delay_alu instid0(VALU_DEP_1) | instskip(SKIP_1) | instid1(VALU_DEP_2)
	v_add_f64_e32 v[10:11], v[12:13], v[10:11]
	v_fma_f64 v[12:13], v[231:232], s[34:35], -v[158:159]
	v_add_f64_e32 v[144:145], v[14:15], v[10:11]
	v_mul_f64_e32 v[14:15], s[26:27], v[199:200]
	s_delay_alu instid0(VALU_DEP_3) | instskip(SKIP_4) | instid1(VALU_DEP_4)
	v_add_f64_e32 v[146:147], v[12:13], v[8:9]
	v_mul_f64_e32 v[12:13], s[40:41], v[207:208]
	v_mul_f64_e32 v[10:11], s[48:49], v[215:216]
	;; [unrolled: 1-line block ×3, first 2 shown]
	v_add_f64_e64 v[14:15], v[86:87], -v[14:15]
	v_add_f64_e64 v[12:13], v[110:111], -v[12:13]
	s_delay_alu instid0(VALU_DEP_4) | instskip(NEXT) | instid1(VALU_DEP_4)
	v_add_f64_e64 v[10:11], v[174:175], -v[10:11]
	v_add_f64_e64 v[8:9], v[182:183], -v[8:9]
	v_mul_f64_e32 v[174:175], s[58:59], v[227:228]
	v_mul_f64_e32 v[182:183], s[20:21], v[243:244]
	v_add_f64_e32 v[4:5], v[14:15], v[4:5]
	v_mul_f64_e32 v[14:15], s[24:25], v[211:212]
	s_delay_alu instid0(VALU_DEP_2) | instskip(SKIP_1) | instid1(VALU_DEP_3)
	v_add_f64_e32 v[4:5], v[12:13], v[4:5]
	v_mul_f64_e32 v[12:13], s[52:53], v[241:242]
	v_add_f64_e32 v[14:15], v[14:15], v[94:95]
	s_delay_alu instid0(VALU_DEP_3) | instskip(NEXT) | instid1(VALU_DEP_3)
	v_add_f64_e32 v[4:5], v[10:11], v[4:5]
	v_add_f64_e64 v[12:13], v[172:173], -v[12:13]
	v_mul_f64_e32 v[10:11], s[18:19], v[221:222]
	s_delay_alu instid0(VALU_DEP_4)
	v_add_f64_e32 v[6:7], v[14:15], v[6:7]
	v_mul_f64_e32 v[14:15], s[2:3], v[225:226]
	v_mul_f64_e32 v[172:173], s[58:59], v[237:238]
	v_add_f64_e32 v[4:5], v[8:9], v[4:5]
	v_mul_f64_e32 v[8:9], s[44:45], v[245:246]
	v_add_f64_e32 v[10:11], v[10:11], v[108:109]
	v_add_f64_e32 v[14:15], v[14:15], v[92:93]
	s_delay_alu instid0(VALU_DEP_4) | instskip(NEXT) | instid1(VALU_DEP_4)
	v_add_f64_e32 v[4:5], v[38:39], v[4:5]
	v_add_f64_e64 v[8:9], v[112:113], -v[8:9]
	s_delay_alu instid0(VALU_DEP_4) | instskip(NEXT) | instid1(VALU_DEP_3)
	v_add_f64_e32 v[6:7], v[10:11], v[6:7]
	v_add_f64_e32 v[4:5], v[12:13], v[4:5]
	v_mul_f64_e32 v[12:13], s[38:39], v[207:208]
	s_delay_alu instid0(VALU_DEP_3) | instskip(NEXT) | instid1(VALU_DEP_3)
	v_add_f64_e32 v[148:149], v[14:15], v[6:7]
	v_add_f64_e32 v[150:151], v[8:9], v[4:5]
	v_mul_f64_e32 v[4:5], s[10:11], v[199:200]
	v_mul_f64_e32 v[8:9], s[10:11], v[190:191]
	v_fma_f64 v[14:15], v[193:194], s[34:35], -v[12:13]
	s_delay_alu instid0(VALU_DEP_3) | instskip(NEXT) | instid1(VALU_DEP_3)
	v_fma_f64 v[6:7], v[186:187], s[2:3], -v[4:5]
	v_fma_f64 v[10:11], v[184:185], s[2:3], v[8:9]
	v_fma_f64 v[4:5], v[186:187], s[2:3], v[4:5]
	v_fma_f64 v[8:9], v[184:185], s[2:3], -v[8:9]
	s_delay_alu instid0(VALU_DEP_4) | instskip(NEXT) | instid1(VALU_DEP_4)
	v_add_f64_e32 v[6:7], v[6:7], v[152:153]
	v_add_f64_e32 v[10:11], v[10:11], v[50:51]
	s_delay_alu instid0(VALU_DEP_4) | instskip(NEXT) | instid1(VALU_DEP_4)
	v_add_f64_e32 v[4:5], v[4:5], v[40:41]
	v_add_f64_e32 v[8:9], v[8:9], v[164:165]
	s_delay_alu instid0(VALU_DEP_4) | instskip(SKIP_1) | instid1(VALU_DEP_1)
	v_add_f64_e32 v[6:7], v[14:15], v[6:7]
	v_mul_f64_e32 v[14:15], s[38:39], v[197:198]
	v_fma_f64 v[16:17], v[188:189], s[34:35], v[14:15]
	s_delay_alu instid0(VALU_DEP_1) | instskip(SKIP_1) | instid1(VALU_DEP_1)
	v_add_f64_e32 v[10:11], v[16:17], v[10:11]
	v_mul_f64_e32 v[16:17], s[16:17], v[215:216]
	v_fma_f64 v[18:19], v[201:202], s[8:9], -v[16:17]
	s_delay_alu instid0(VALU_DEP_1) | instskip(SKIP_1) | instid1(VALU_DEP_1)
	v_add_f64_e32 v[6:7], v[18:19], v[6:7]
	v_mul_f64_e32 v[18:19], s[16:17], v[205:206]
	v_fma_f64 v[34:35], v[195:196], s[8:9], v[18:19]
	s_delay_alu instid0(VALU_DEP_1) | instskip(SKIP_1) | instid1(VALU_DEP_1)
	v_add_f64_e32 v[10:11], v[34:35], v[10:11]
	v_mul_f64_e32 v[34:35], s[56:57], v[229:230]
	v_fma_f64 v[36:37], v[209:210], s[28:29], -v[34:35]
	s_delay_alu instid0(VALU_DEP_1) | instskip(SKIP_1) | instid1(VALU_DEP_1)
	;; [unrolled: 8-line block ×5, first 2 shown]
	v_add_f64_e32 v[154:155], v[54:55], v[6:7]
	v_mul_f64_e32 v[6:7], s[26:27], v[243:244]
	v_fma_f64 v[54:55], v[225:226], s[22:23], v[6:7]
	v_fma_f64 v[6:7], v[225:226], s[22:23], -v[6:7]
	s_delay_alu instid0(VALU_DEP_2) | instskip(SKIP_1) | instid1(VALU_DEP_1)
	v_add_f64_e32 v[152:153], v[54:55], v[10:11]
	v_mul_f64_e32 v[10:11], s[30:31], v[199:200]
	v_fma_f64 v[54:55], v[186:187], s[24:25], v[10:11]
	v_fma_f64 v[10:11], v[186:187], s[24:25], -v[10:11]
	s_delay_alu instid0(VALU_DEP_2) | instskip(SKIP_1) | instid1(VALU_DEP_3)
	v_add_f64_e32 v[42:43], v[54:55], v[42:43]
	v_mul_f64_e32 v[54:55], s[30:31], v[190:191]
	v_add_f64_e32 v[10:11], v[10:11], v[32:33]
	s_delay_alu instid0(VALU_DEP_2) | instskip(SKIP_1) | instid1(VALU_DEP_2)
	v_fma_f64 v[56:57], v[184:185], s[24:25], -v[54:55]
	v_fma_f64 v[32:33], v[184:185], s[24:25], v[54:55]
	v_add_f64_e32 v[56:57], v[56:57], v[156:157]
	v_fma_f64 v[156:157], v[193:194], s[2:3], v[58:59]
	s_delay_alu instid0(VALU_DEP_3) | instskip(SKIP_1) | instid1(VALU_DEP_3)
	v_add_f64_e32 v[32:33], v[32:33], v[52:53]
	v_fma_f64 v[52:53], v[225:226], s[18:19], v[182:183]
	v_add_f64_e32 v[42:43], v[156:157], v[42:43]
	v_fma_f64 v[156:157], v[188:189], s[2:3], -v[160:161]
	s_delay_alu instid0(VALU_DEP_1) | instskip(SKIP_1) | instid1(VALU_DEP_1)
	v_add_f64_e32 v[56:57], v[156:157], v[56:57]
	v_fma_f64 v[156:157], v[201:202], s[34:35], v[162:163]
	v_add_f64_e32 v[42:43], v[156:157], v[42:43]
	v_fma_f64 v[156:157], v[195:196], s[34:35], -v[166:167]
	s_delay_alu instid0(VALU_DEP_1) | instskip(SKIP_1) | instid1(VALU_DEP_1)
	;; [unrolled: 5-line block ×6, first 2 shown]
	v_add_f64_e32 v[156:157], v[42:43], v[56:57]
	v_fma_f64 v[42:43], v[193:194], s[2:3], -v[58:59]
	v_add_f64_e32 v[10:11], v[42:43], v[10:11]
	v_fma_f64 v[42:43], v[188:189], s[2:3], v[160:161]
	s_delay_alu instid0(VALU_DEP_1) | instskip(SKIP_1) | instid1(VALU_DEP_1)
	v_add_f64_e32 v[32:33], v[42:43], v[32:33]
	v_fma_f64 v[42:43], v[201:202], s[34:35], -v[162:163]
	v_add_f64_e32 v[10:11], v[42:43], v[10:11]
	v_fma_f64 v[42:43], v[195:196], s[34:35], v[166:167]
	s_delay_alu instid0(VALU_DEP_1) | instskip(SKIP_1) | instid1(VALU_DEP_1)
	;; [unrolled: 5-line block ×4, first 2 shown]
	v_add_f64_e32 v[32:33], v[42:43], v[32:33]
	v_fma_f64 v[42:43], v[223:224], s[36:37], -v[176:177]
	v_add_f64_e32 v[10:11], v[42:43], v[10:11]
	v_fma_f64 v[42:43], v[221:222], s[36:37], v[178:179]
	s_delay_alu instid0(VALU_DEP_1) | instskip(SKIP_1) | instid1(VALU_DEP_2)
	v_add_f64_e32 v[32:33], v[42:43], v[32:33]
	v_fma_f64 v[42:43], v[231:232], s[18:19], -v[180:181]
	v_add_f64_e32 v[160:161], v[52:53], v[32:33]
	s_delay_alu instid0(VALU_DEP_2) | instskip(SKIP_3) | instid1(VALU_DEP_3)
	v_add_f64_e32 v[162:163], v[42:43], v[10:11]
	v_fma_f64 v[10:11], v[193:194], s[34:35], v[12:13]
	v_fma_f64 v[12:13], v[188:189], s[34:35], -v[14:15]
	v_fma_f64 v[14:15], v[201:202], s[8:9], v[16:17]
	v_add_f64_e32 v[4:5], v[10:11], v[4:5]
	v_fma_f64 v[10:11], v[195:196], s[8:9], -v[18:19]
	s_delay_alu instid0(VALU_DEP_4) | instskip(SKIP_1) | instid1(VALU_DEP_4)
	v_add_f64_e32 v[8:9], v[12:13], v[8:9]
	v_fma_f64 v[12:13], v[209:210], s[28:29], v[34:35]
	v_add_f64_e32 v[4:5], v[14:15], v[4:5]
	v_fma_f64 v[14:15], v[203:204], s[28:29], -v[36:37]
	s_delay_alu instid0(VALU_DEP_4) | instskip(SKIP_1) | instid1(VALU_DEP_4)
	v_add_f64_e32 v[8:9], v[10:11], v[8:9]
	v_fma_f64 v[10:11], v[219:220], s[18:19], v[38:39]
	v_add_f64_e32 v[4:5], v[12:13], v[4:5]
	v_fma_f64 v[12:13], v[211:212], s[18:19], -v[44:45]
	s_delay_alu instid0(VALU_DEP_4) | instskip(SKIP_1) | instid1(VALU_DEP_4)
	v_add_f64_e32 v[8:9], v[14:15], v[8:9]
	v_fma_f64 v[14:15], v[223:224], s[24:25], v[46:47]
	v_add_f64_e32 v[4:5], v[10:11], v[4:5]
	v_fma_f64 v[10:11], v[221:222], s[24:25], -v[48:49]
	s_delay_alu instid0(VALU_DEP_4) | instskip(SKIP_1) | instid1(VALU_DEP_4)
	v_add_f64_e32 v[8:9], v[12:13], v[8:9]
	v_fma_f64 v[12:13], v[231:232], s[22:23], v[50:51]
	v_add_f64_e32 v[4:5], v[14:15], v[4:5]
	s_delay_alu instid0(VALU_DEP_3) | instskip(NEXT) | instid1(VALU_DEP_2)
	v_add_f64_e32 v[8:9], v[10:11], v[8:9]
	v_add_f64_e32 v[166:167], v[12:13], v[4:5]
	scratch_load_b32 v4, off, off           ; 4-byte Folded Reload
	v_add_f64_e32 v[164:165], v[6:7], v[8:9]
	s_wait_loadcnt 0x0
	v_mul_lo_u16 v4, v4, 17
	s_delay_alu instid0(VALU_DEP_1) | instskip(NEXT) | instid1(VALU_DEP_1)
	v_and_b32_e32 v4, 0xffff, v4
	v_lshlrev_b32_e32 v4, 4, v4
	ds_store_b128 v4, v[136:139] offset:32
	ds_store_b128 v4, v[140:143] offset:48
	ds_store_b128 v4, v[144:147] offset:96
	ds_store_b128 v4, v[128:131] offset:112
	ds_store_b128 v4, v[124:127] offset:128
	ds_store_b128 v4, v[120:123] offset:144
	ds_store_b128 v4, v[20:23] offset:160
	scratch_load_b128 v[5:8], off, off offset:44 ; 16-byte Folded Reload
	s_wait_loadcnt 0x0
	ds_store_b128 v4, v[5:8] offset:224
	scratch_load_b128 v[5:8], off, off offset:28 ; 16-byte Folded Reload
	s_wait_loadcnt 0x0
	ds_store_b128 v4, v[5:8] offset:240
	ds_store_b128 v4, v[132:135] offset:176
	;; [unrolled: 1-line block ×4, first 2 shown]
	scratch_load_b128 v[5:8], off, off offset:60 ; 16-byte Folded Reload
	s_wait_loadcnt 0x0
	ds_store_b128 v4, v[5:8] offset:208
	ds_store_b128 v4, v[156:159] offset:192
	;; [unrolled: 1-line block ×3, first 2 shown]
	ds_store_b128 v4, v[0:3]
	ds_store_b128 v4, v[164:167] offset:256
.LBB0_17:
	s_wait_alu 0xfffe
	s_or_b32 exec_lo, exec_lo, s1
	global_wb scope:SCOPE_SE
	s_wait_dscnt 0x0
	s_barrier_signal -1
	s_barrier_wait -1
	global_inv scope:SCOPE_SE
	ds_load_b128 v[0:3], v255 offset:2176
	ds_load_b128 v[20:23], v255
	scratch_load_b128 v[6:9], off, off offset:76 th:TH_LOAD_LU ; 16-byte Folded Reload
	s_mov_b32 s38, 0x24c2f84
	s_mov_b32 s39, 0xbfe5384d
	;; [unrolled: 1-line block ×29, first 2 shown]
	s_wait_alu 0xfffe
	s_mov_b32 s42, s46
	s_mov_b32 s36, s44
	;; [unrolled: 1-line block ×7, first 2 shown]
	s_wait_loadcnt_dscnt 0x1
	v_mul_f64_e32 v[4:5], v[8:9], v[2:3]
	s_delay_alu instid0(VALU_DEP_1) | instskip(SKIP_1) | instid1(VALU_DEP_1)
	v_fma_f64 v[12:13], v[6:7], v[0:1], v[4:5]
	v_mul_f64_e32 v[0:1], v[8:9], v[0:1]
	v_fma_f64 v[14:15], v[6:7], v[2:3], -v[0:1]
	ds_load_b128 v[0:3], v255 offset:4352
	ds_load_b128 v[4:7], v255 offset:6528
	scratch_load_b128 v[16:19], off, off offset:124 th:TH_LOAD_LU ; 16-byte Folded Reload
	s_wait_loadcnt_dscnt 0x1
	v_mul_f64_e32 v[8:9], v[18:19], v[0:1]
	s_delay_alu instid0(VALU_DEP_1) | instskip(SKIP_1) | instid1(VALU_DEP_1)
	v_fma_f64 v[128:129], v[16:17], v[2:3], -v[8:9]
	v_mul_f64_e32 v[2:3], v[18:19], v[2:3]
	v_fma_f64 v[130:131], v[16:17], v[0:1], v[2:3]
	scratch_load_b128 v[16:19], off, off offset:92 th:TH_LOAD_LU ; 16-byte Folded Reload
	ds_load_b128 v[0:3], v255 offset:26112
	s_wait_loadcnt_dscnt 0x0
	v_mul_f64_e32 v[8:9], v[18:19], v[0:1]
	s_delay_alu instid0(VALU_DEP_1) | instskip(SKIP_1) | instid1(VALU_DEP_1)
	v_fma_f64 v[120:121], v[16:17], v[2:3], -v[8:9]
	v_mul_f64_e32 v[2:3], v[18:19], v[2:3]
	v_fma_f64 v[122:123], v[16:17], v[0:1], v[2:3]
	ds_load_b128 v[0:3], v255 offset:23936
	ds_load_b128 v[8:11], v255 offset:21760
	scratch_load_b128 v[24:27], off, off offset:108 th:TH_LOAD_LU ; 16-byte Folded Reload
	v_add_f64_e64 v[152:153], v[12:13], -v[122:123]
	s_wait_loadcnt_dscnt 0x1
	v_mul_f64_e32 v[16:17], v[26:27], v[0:1]
	s_delay_alu instid0(VALU_DEP_1) | instskip(SKIP_4) | instid1(VALU_DEP_3)
	v_fma_f64 v[124:125], v[24:25], v[2:3], -v[16:17]
	scratch_load_b128 v[16:19], off, off offset:188 th:TH_LOAD_LU ; 16-byte Folded Reload
	v_mul_f64_e32 v[2:3], v[26:27], v[2:3]
	v_add_f64_e64 v[180:181], v[128:129], -v[124:125]
	v_add_f64_e32 v[182:183], v[128:129], v[124:125]
	v_fma_f64 v[126:127], v[24:25], v[0:1], v[2:3]
	s_delay_alu instid0(VALU_DEP_3) | instskip(SKIP_1) | instid1(VALU_DEP_4)
	v_mul_f64_e32 v[229:230], s[24:25], v[180:181]
	v_mul_f64_e32 v[247:248], s[28:29], v[180:181]
	;; [unrolled: 1-line block ×3, first 2 shown]
	s_wait_alu 0xfffe
	v_mul_f64_e32 v[68:69], s[26:27], v[180:181]
	v_mul_f64_e32 v[70:71], s[8:9], v[182:183]
	;; [unrolled: 1-line block ×3, first 2 shown]
	s_wait_loadcnt 0x0
	v_mul_f64_e32 v[0:1], v[18:19], v[6:7]
	s_delay_alu instid0(VALU_DEP_1)
	v_fma_f64 v[132:133], v[16:17], v[4:5], v[0:1]
	v_mul_f64_e32 v[0:1], v[18:19], v[4:5]
	scratch_load_b128 v[2:5], off, off offset:220 th:TH_LOAD_LU ; 16-byte Folded Reload
	v_fma_f64 v[134:135], v[16:17], v[6:7], -v[0:1]
	s_wait_loadcnt_dscnt 0x0
	v_mul_f64_e32 v[0:1], v[4:5], v[10:11]
	s_delay_alu instid0(VALU_DEP_1) | instskip(SKIP_1) | instid1(VALU_DEP_2)
	v_fma_f64 v[44:45], v[2:3], v[8:9], v[0:1]
	v_mul_f64_e32 v[0:1], v[4:5], v[8:9]
	v_add_f64_e64 v[188:189], v[132:133], -v[44:45]
	s_delay_alu instid0(VALU_DEP_2)
	v_fma_f64 v[46:47], v[2:3], v[10:11], -v[0:1]
	ds_load_b128 v[0:3], v255 offset:8704
	ds_load_b128 v[4:7], v255 offset:10880
	scratch_load_b128 v[16:19], off, off offset:140 th:TH_LOAD_LU ; 16-byte Folded Reload
	v_add_f64_e64 v[184:185], v[134:135], -v[46:47]
	v_add_f64_e32 v[186:187], v[134:135], v[46:47]
	s_delay_alu instid0(VALU_DEP_2) | instskip(NEXT) | instid1(VALU_DEP_2)
	v_mul_f64_e32 v[231:232], s[28:29], v[184:185]
	v_mul_f64_e32 v[190:191], s[18:19], v[186:187]
	;; [unrolled: 1-line block ×7, first 2 shown]
	s_wait_loadcnt_dscnt 0x1
	v_mul_f64_e32 v[8:9], v[18:19], v[2:3]
	s_delay_alu instid0(VALU_DEP_1) | instskip(SKIP_1) | instid1(VALU_DEP_1)
	v_fma_f64 v[52:53], v[16:17], v[0:1], v[8:9]
	v_mul_f64_e32 v[0:1], v[18:19], v[0:1]
	v_fma_f64 v[54:55], v[16:17], v[2:3], -v[0:1]
	ds_load_b128 v[0:3], v255 offset:19584
	ds_load_b128 v[8:11], v255 offset:17408
	scratch_load_b128 v[24:27], off, off offset:156 th:TH_LOAD_LU ; 16-byte Folded Reload
	s_wait_loadcnt_dscnt 0x1
	v_mul_f64_e32 v[16:17], v[26:27], v[2:3]
	s_delay_alu instid0(VALU_DEP_1) | instskip(SKIP_4) | instid1(VALU_DEP_3)
	v_fma_f64 v[32:33], v[24:25], v[0:1], v[16:17]
	scratch_load_b128 v[16:19], off, off offset:236 th:TH_LOAD_LU ; 16-byte Folded Reload
	v_mul_f64_e32 v[0:1], v[26:27], v[0:1]
	v_add_f64_e32 v[195:196], v[52:53], v[32:33]
	v_add_f64_e64 v[201:202], v[52:53], -v[32:33]
	v_fma_f64 v[34:35], v[24:25], v[2:3], -v[0:1]
	s_delay_alu instid0(VALU_DEP_1) | instskip(SKIP_1) | instid1(VALU_DEP_2)
	v_add_f64_e64 v[193:194], v[54:55], -v[34:35]
	v_add_f64_e32 v[199:200], v[54:55], v[34:35]
	v_mul_f64_e32 v[197:198], s[24:25], v[193:194]
	s_delay_alu instid0(VALU_DEP_2)
	v_mul_f64_e32 v[203:204], s[10:11], v[199:200]
	v_mul_f64_e32 v[235:236], s[26:27], v[193:194]
	;; [unrolled: 1-line block ×6, first 2 shown]
	s_delay_alu instid0(VALU_DEP_3) | instskip(NEXT) | instid1(VALU_DEP_3)
	v_fma_f64 v[26:27], v[195:196], s[20:21], v[24:25]
	v_fma_f64 v[78:79], v[195:196], s[18:19], v[76:77]
	s_delay_alu instid0(VALU_DEP_3) | instskip(SKIP_3) | instid1(VALU_DEP_1)
	v_fma_f64 v[86:87], v[195:196], s[2:3], v[84:85]
	v_fma_f64 v[24:25], v[195:196], s[20:21], -v[24:25]
	s_wait_loadcnt 0x0
	v_mul_f64_e32 v[0:1], v[18:19], v[6:7]
	v_fma_f64 v[136:137], v[16:17], v[4:5], v[0:1]
	v_mul_f64_e32 v[0:1], v[18:19], v[4:5]
	s_delay_alu instid0(VALU_DEP_1) | instskip(SKIP_2) | instid1(VALU_DEP_1)
	v_fma_f64 v[56:57], v[16:17], v[6:7], -v[0:1]
	s_wait_dscnt 0x0
	v_mul_f64_e32 v[0:1], v[62:63], v[10:11]
	v_fma_f64 v[36:37], v[60:61], v[8:9], v[0:1]
	v_mul_f64_e32 v[0:1], v[62:63], v[8:9]
	s_delay_alu instid0(VALU_DEP_2) | instskip(NEXT) | instid1(VALU_DEP_2)
	v_add_f64_e32 v[207:208], v[136:137], v[36:37]
	v_fma_f64 v[38:39], v[60:61], v[10:11], -v[0:1]
	ds_load_b128 v[0:3], v255 offset:13056
	ds_load_b128 v[4:7], v255 offset:15232
	scratch_load_b128 v[16:19], off, off offset:172 th:TH_LOAD_LU ; 16-byte Folded Reload
	v_add_f64_e64 v[213:214], v[136:137], -v[36:37]
	v_add_f64_e64 v[205:206], v[56:57], -v[38:39]
	v_add_f64_e32 v[211:212], v[56:57], v[38:39]
	s_delay_alu instid0(VALU_DEP_2) | instskip(NEXT) | instid1(VALU_DEP_2)
	v_mul_f64_e32 v[209:210], s[38:39], v[205:206]
	v_mul_f64_e32 v[215:216], s[8:9], v[211:212]
	;; [unrolled: 1-line block ×7, first 2 shown]
	s_delay_alu instid0(VALU_DEP_3) | instskip(NEXT) | instid1(VALU_DEP_3)
	v_fma_f64 v[30:31], v[207:208], s[16:17], v[28:29]
	v_fma_f64 v[110:111], v[207:208], s[2:3], v[108:109]
	s_delay_alu instid0(VALU_DEP_3) | instskip(SKIP_2) | instid1(VALU_DEP_1)
	v_fma_f64 v[90:91], v[207:208], s[20:21], v[88:89]
	s_wait_loadcnt_dscnt 0x1
	v_mul_f64_e32 v[8:9], v[18:19], v[2:3]
	v_fma_f64 v[58:59], v[16:17], v[0:1], v[8:9]
	scratch_load_b128 v[8:11], off, off offset:204 th:TH_LOAD_LU ; 16-byte Folded Reload
	v_mul_f64_e32 v[0:1], v[18:19], v[0:1]
	global_wb scope:SCOPE_SE
	s_wait_loadcnt_dscnt 0x0
	s_barrier_signal -1
	s_barrier_wait -1
	global_inv scope:SCOPE_SE
	v_fma_f64 v[40:41], v[16:17], v[2:3], -v[0:1]
	v_add_f64_e32 v[16:17], v[12:13], v[122:123]
	v_mul_f64_e32 v[0:1], v[10:11], v[6:7]
	s_delay_alu instid0(VALU_DEP_1) | instskip(SKIP_1) | instid1(VALU_DEP_2)
	v_fma_f64 v[42:43], v[8:9], v[4:5], v[0:1]
	v_mul_f64_e32 v[0:1], v[10:11], v[4:5]
	v_add_f64_e32 v[219:220], v[58:59], v[42:43]
	s_delay_alu instid0(VALU_DEP_2) | instskip(SKIP_2) | instid1(VALU_DEP_3)
	v_fma_f64 v[48:49], v[8:9], v[6:7], -v[0:1]
	v_add_f64_e64 v[0:1], v[14:15], -v[120:121]
	v_add_f64_e64 v[225:226], v[58:59], -v[42:43]
	;; [unrolled: 1-line block ×3, first 2 shown]
	s_delay_alu instid0(VALU_DEP_3)
	v_mul_f64_e32 v[10:11], s[38:39], v[0:1]
	v_mul_f64_e32 v[2:3], s[46:47], v[0:1]
	;; [unrolled: 1-line block ×6, first 2 shown]
	v_add_f64_e32 v[223:224], v[40:41], v[48:49]
	v_mul_f64_e32 v[221:222], s[28:29], v[217:218]
	v_fma_f64 v[144:145], v[16:17], s[8:9], v[10:11]
	v_fma_f64 v[146:147], v[16:17], s[8:9], -v[10:11]
	v_add_f64_e32 v[10:11], v[14:15], v[120:121]
	v_fma_f64 v[18:19], v[16:17], s[20:21], v[2:3]
	v_fma_f64 v[2:3], v[16:17], s[20:21], -v[2:3]
	v_fma_f64 v[138:139], v[16:17], s[16:17], v[4:5]
	v_fma_f64 v[4:5], v[16:17], s[16:17], -v[4:5]
	;; [unrolled: 2-line block ×5, first 2 shown]
	v_mul_f64_e32 v[227:228], s[2:3], v[223:224]
	v_mul_f64_e32 v[243:244], s[42:43], v[217:218]
	;; [unrolled: 1-line block ×6, first 2 shown]
	v_add_f64_e32 v[174:175], v[20:21], v[146:147]
	v_mul_f64_e32 v[16:17], s[20:21], v[10:11]
	v_mul_f64_e32 v[50:51], s[16:17], v[10:11]
	;; [unrolled: 1-line block ×6, first 2 shown]
	v_add_f64_e32 v[2:3], v[20:21], v[2:3]
	v_add_f64_e32 v[172:173], v[20:21], v[138:139]
	v_mul_f64_e32 v[146:147], s[16:17], v[182:183]
	v_fma_f64 v[66:67], v[219:220], s[8:9], v[64:65]
	v_fma_f64 v[114:115], v[219:220], s[16:17], v[112:113]
	;; [unrolled: 1-line block ×13, first 2 shown]
	v_add_f64_e32 v[60:61], v[22:23], v[14:15]
	v_add_f64_e32 v[62:63], v[20:21], v[18:19]
	;; [unrolled: 1-line block ×7, first 2 shown]
	v_mul_f64_e32 v[142:143], s[34:35], v[180:181]
	v_fma_f64 v[156:157], v[152:153], s[40:41], v[50:51]
	v_fma_f64 v[152:153], v[152:153], s[28:29], v[10:11]
	v_add_f64_e32 v[50:51], v[20:21], v[12:13]
	v_add_f64_e32 v[10:11], v[20:21], v[8:9]
	;; [unrolled: 1-line block ×15, first 2 shown]
	v_add_f64_e64 v[144:145], v[130:131], -v[126:127]
	v_add_f64_e32 v[148:149], v[132:133], v[44:45]
	v_mul_f64_e32 v[150:151], s[44:45], v[184:185]
	v_fma_f64 v[0:1], v[140:141], s[16:17], -v[142:143]
	v_add_f64_e32 v[156:157], v[22:23], v[156:157]
	v_add_f64_e32 v[178:179], v[22:23], v[152:153]
	v_fma_f64 v[118:119], v[144:145], s[44:45], v[116:117]
	v_fma_f64 v[152:153], v[148:149], s[2:3], v[231:232]
	v_fma_f64 v[20:21], v[148:149], s[18:19], -v[150:151]
	v_fma_f64 v[74:75], v[148:149], s[20:21], v[72:73]
	v_add_f64_e32 v[0:1], v[0:1], v[2:3]
	v_fma_f64 v[2:3], v[144:145], s[34:35], v[146:147]
	v_fma_f64 v[82:83], v[148:149], s[16:17], v[80:81]
	v_fma_f64 v[80:81], v[148:149], s[16:17], -v[80:81]
	v_add_f64_e32 v[118:119], v[118:119], v[164:165]
	v_add_f64_e32 v[0:1], v[20:21], v[0:1]
	;; [unrolled: 1-line block ×3, first 2 shown]
	v_fma_f64 v[20:21], v[188:189], s[44:45], v[190:191]
	v_fma_f64 v[154:155], v[148:149], s[10:11], v[251:252]
	s_delay_alu instid0(VALU_DEP_2) | instskip(SKIP_1) | instid1(VALU_DEP_1)
	v_add_f64_e32 v[2:3], v[20:21], v[2:3]
	v_fma_f64 v[20:21], v[195:196], s[10:11], -v[197:198]
	v_add_f64_e32 v[0:1], v[20:21], v[0:1]
	v_fma_f64 v[20:21], v[201:202], s[24:25], v[203:204]
	s_delay_alu instid0(VALU_DEP_1) | instskip(SKIP_1) | instid1(VALU_DEP_1)
	v_add_f64_e32 v[2:3], v[20:21], v[2:3]
	v_fma_f64 v[20:21], v[207:208], s[8:9], -v[209:210]
	v_add_f64_e32 v[0:1], v[20:21], v[0:1]
	v_fma_f64 v[20:21], v[213:214], s[38:39], v[215:216]
	s_delay_alu instid0(VALU_DEP_1) | instskip(SKIP_1) | instid1(VALU_DEP_1)
	;; [unrolled: 5-line block ×3, first 2 shown]
	v_add_f64_e32 v[2:3], v[20:21], v[2:3]
	v_fma_f64 v[20:21], v[140:141], s[10:11], v[229:230]
	v_add_f64_e32 v[20:21], v[20:21], v[172:173]
	v_mul_f64_e32 v[172:173], s[10:11], v[182:183]
	s_delay_alu instid0(VALU_DEP_2) | instskip(NEXT) | instid1(VALU_DEP_2)
	v_add_f64_e32 v[20:21], v[152:153], v[20:21]
	v_fma_f64 v[22:23], v[144:145], s[30:31], v[172:173]
	v_fma_f64 v[152:153], v[188:189], s[22:23], v[233:234]
	s_delay_alu instid0(VALU_DEP_2) | instskip(NEXT) | instid1(VALU_DEP_1)
	v_add_f64_e32 v[22:23], v[22:23], v[156:157]
	v_add_f64_e32 v[22:23], v[152:153], v[22:23]
	v_fma_f64 v[152:153], v[195:196], s[8:9], v[235:236]
	s_delay_alu instid0(VALU_DEP_1) | instskip(SKIP_1) | instid1(VALU_DEP_1)
	v_add_f64_e32 v[20:21], v[152:153], v[20:21]
	v_fma_f64 v[152:153], v[201:202], s[38:39], v[237:238]
	v_add_f64_e32 v[22:23], v[152:153], v[22:23]
	v_fma_f64 v[152:153], v[207:208], s[18:19], v[239:240]
	s_delay_alu instid0(VALU_DEP_1) | instskip(SKIP_1) | instid1(VALU_DEP_1)
	v_add_f64_e32 v[20:21], v[152:153], v[20:21]
	v_fma_f64 v[152:153], v[213:214], s[44:45], v[241:242]
	;; [unrolled: 5-line block ×3, first 2 shown]
	v_add_f64_e32 v[22:23], v[152:153], v[22:23]
	v_fma_f64 v[152:153], v[140:141], s[2:3], v[247:248]
	s_delay_alu instid0(VALU_DEP_1) | instskip(SKIP_1) | instid1(VALU_DEP_2)
	v_add_f64_e32 v[4:5], v[152:153], v[4:5]
	v_fma_f64 v[152:153], v[144:145], s[22:23], v[249:250]
	v_add_f64_e32 v[4:5], v[154:155], v[4:5]
	s_delay_alu instid0(VALU_DEP_2) | instskip(SKIP_1) | instid1(VALU_DEP_3)
	v_add_f64_e32 v[152:153], v[152:153], v[158:159]
	v_fma_f64 v[154:155], v[188:189], s[24:25], v[253:254]
	v_add_f64_e32 v[4:5], v[26:27], v[4:5]
	v_mul_f64_e32 v[26:27], s[20:21], v[199:200]
	s_delay_alu instid0(VALU_DEP_3) | instskip(NEXT) | instid1(VALU_DEP_3)
	v_add_f64_e32 v[152:153], v[154:155], v[152:153]
	v_add_f64_e32 v[4:5], v[30:31], v[4:5]
	s_delay_alu instid0(VALU_DEP_3) | instskip(SKIP_1) | instid1(VALU_DEP_2)
	v_fma_f64 v[154:155], v[201:202], s[46:47], v[26:27]
	v_mul_f64_e32 v[30:31], s[16:17], v[211:212]
	v_add_f64_e32 v[152:153], v[154:155], v[152:153]
	s_delay_alu instid0(VALU_DEP_2) | instskip(NEXT) | instid1(VALU_DEP_1)
	v_fma_f64 v[154:155], v[213:214], s[40:41], v[30:31]
	v_add_f64_e32 v[154:155], v[154:155], v[152:153]
	v_add_f64_e32 v[152:153], v[66:67], v[4:5]
	v_mul_f64_e32 v[66:67], s[8:9], v[223:224]
	s_delay_alu instid0(VALU_DEP_1) | instskip(NEXT) | instid1(VALU_DEP_1)
	v_fma_f64 v[4:5], v[225:226], s[26:27], v[66:67]
	v_add_f64_e32 v[154:155], v[4:5], v[154:155]
	v_fma_f64 v[4:5], v[140:141], s[8:9], v[68:69]
	v_fma_f64 v[68:69], v[140:141], s[8:9], -v[68:69]
	s_delay_alu instid0(VALU_DEP_2) | instskip(NEXT) | instid1(VALU_DEP_2)
	v_add_f64_e32 v[4:5], v[4:5], v[6:7]
	v_add_f64_e32 v[10:11], v[68:69], v[10:11]
	v_fma_f64 v[68:69], v[144:145], s[26:27], v[70:71]
	v_fma_f64 v[6:7], v[144:145], s[38:39], v[70:71]
	s_delay_alu instid0(VALU_DEP_4) | instskip(SKIP_1) | instid1(VALU_DEP_4)
	v_add_f64_e32 v[4:5], v[74:75], v[4:5]
	v_mul_f64_e32 v[74:75], s[20:21], v[186:187]
	v_add_f64_e32 v[8:9], v[68:69], v[8:9]
	v_fma_f64 v[68:69], v[148:149], s[20:21], -v[72:73]
	v_add_f64_e32 v[6:7], v[6:7], v[160:161]
	v_add_f64_e32 v[4:5], v[78:79], v[4:5]
	v_fma_f64 v[156:157], v[188:189], s[46:47], v[74:75]
	v_mul_f64_e32 v[78:79], s[18:19], v[199:200]
	v_add_f64_e32 v[10:11], v[68:69], v[10:11]
	v_fma_f64 v[68:69], v[188:189], s[42:43], v[74:75]
	v_add_f64_e32 v[4:5], v[110:111], v[4:5]
	v_add_f64_e32 v[6:7], v[156:157], v[6:7]
	v_fma_f64 v[156:157], v[201:202], s[36:37], v[78:79]
	v_mul_f64_e32 v[110:111], s[2:3], v[211:212]
	v_add_f64_e32 v[8:9], v[68:69], v[8:9]
	v_fma_f64 v[68:69], v[195:196], s[18:19], -v[76:77]
	s_delay_alu instid0(VALU_DEP_4) | instskip(NEXT) | instid1(VALU_DEP_4)
	v_add_f64_e32 v[6:7], v[156:157], v[6:7]
	v_fma_f64 v[156:157], v[213:214], s[28:29], v[110:111]
	s_delay_alu instid0(VALU_DEP_3) | instskip(SKIP_1) | instid1(VALU_DEP_3)
	v_add_f64_e32 v[10:11], v[68:69], v[10:11]
	v_fma_f64 v[68:69], v[201:202], s[44:45], v[78:79]
	v_add_f64_e32 v[6:7], v[156:157], v[6:7]
	v_add_f64_e32 v[156:157], v[114:115], v[4:5]
	v_mul_f64_e32 v[114:115], s[16:17], v[223:224]
	s_delay_alu instid0(VALU_DEP_4) | instskip(SKIP_1) | instid1(VALU_DEP_3)
	v_add_f64_e32 v[8:9], v[68:69], v[8:9]
	v_fma_f64 v[68:69], v[207:208], s[2:3], -v[108:109]
	v_fma_f64 v[4:5], v[225:226], s[34:35], v[114:115]
	v_fma_f64 v[70:71], v[225:226], s[40:41], v[114:115]
	s_delay_alu instid0(VALU_DEP_3) | instskip(SKIP_1) | instid1(VALU_DEP_4)
	v_add_f64_e32 v[10:11], v[68:69], v[10:11]
	v_fma_f64 v[68:69], v[213:214], s[22:23], v[110:111]
	v_add_f64_e32 v[158:159], v[4:5], v[6:7]
	v_mul_f64_e32 v[4:5], s[36:37], v[180:181]
	s_delay_alu instid0(VALU_DEP_3) | instskip(SKIP_1) | instid1(VALU_DEP_3)
	v_add_f64_e32 v[68:69], v[68:69], v[8:9]
	v_fma_f64 v[8:9], v[219:220], s[16:17], -v[112:113]
	v_fma_f64 v[6:7], v[140:141], s[18:19], v[4:5]
	v_fma_f64 v[4:5], v[140:141], s[18:19], -v[4:5]
	s_delay_alu instid0(VALU_DEP_3) | instskip(SKIP_4) | instid1(VALU_DEP_3)
	v_add_f64_e32 v[8:9], v[8:9], v[10:11]
	v_add_f64_e32 v[10:11], v[70:71], v[68:69]
	v_fma_f64 v[68:69], v[140:141], s[2:3], -v[247:248]
	v_add_f64_e32 v[6:7], v[6:7], v[162:163]
	v_add_f64_e32 v[4:5], v[4:5], v[174:175]
	;; [unrolled: 1-line block ×3, first 2 shown]
	v_fma_f64 v[68:69], v[144:145], s[28:29], v[249:250]
	s_delay_alu instid0(VALU_DEP_4) | instskip(SKIP_2) | instid1(VALU_DEP_4)
	v_add_f64_e32 v[6:7], v[82:83], v[6:7]
	v_mul_f64_e32 v[82:83], s[16:17], v[186:187]
	v_add_f64_e32 v[4:5], v[80:81], v[4:5]
	v_add_f64_e32 v[12:13], v[68:69], v[12:13]
	v_fma_f64 v[68:69], v[148:149], s[10:11], -v[251:252]
	v_add_f64_e32 v[6:7], v[86:87], v[6:7]
	v_fma_f64 v[160:161], v[188:189], s[40:41], v[82:83]
	v_mul_f64_e32 v[86:87], s[2:3], v[199:200]
	v_fma_f64 v[80:81], v[188:189], s[34:35], v[82:83]
	v_fma_f64 v[82:83], v[195:196], s[2:3], -v[84:85]
	v_add_f64_e32 v[14:15], v[68:69], v[14:15]
	v_fma_f64 v[68:69], v[188:189], s[30:31], v[253:254]
	v_add_f64_e32 v[6:7], v[90:91], v[6:7]
	v_add_f64_e32 v[118:119], v[160:161], v[118:119]
	v_fma_f64 v[160:161], v[201:202], s[28:29], v[86:87]
	v_mul_f64_e32 v[90:91], s[20:21], v[211:212]
	v_add_f64_e32 v[4:5], v[82:83], v[4:5]
	v_fma_f64 v[82:83], v[201:202], s[22:23], v[86:87]
	v_add_f64_e32 v[14:15], v[24:25], v[14:15]
	v_add_f64_e32 v[12:13], v[68:69], v[12:13]
	v_fma_f64 v[24:25], v[201:202], s[42:43], v[26:27]
	v_fma_f64 v[26:27], v[225:226], s[38:39], v[66:67]
	v_add_f64_e32 v[118:119], v[160:161], v[118:119]
	v_fma_f64 v[160:161], v[213:214], s[46:47], v[90:91]
	s_delay_alu instid0(VALU_DEP_4) | instskip(SKIP_2) | instid1(VALU_DEP_4)
	v_add_f64_e32 v[12:13], v[24:25], v[12:13]
	v_fma_f64 v[24:25], v[207:208], s[16:17], -v[28:29]
	v_fma_f64 v[28:29], v[148:149], s[18:19], v[150:151]
	v_add_f64_e32 v[118:119], v[160:161], v[118:119]
	v_add_f64_e32 v[160:161], v[94:95], v[6:7]
	v_mul_f64_e32 v[6:7], s[10:11], v[223:224]
	v_add_f64_e32 v[14:15], v[24:25], v[14:15]
	v_fma_f64 v[24:25], v[213:214], s[34:35], v[30:31]
	v_fma_f64 v[30:31], v[188:189], s[36:37], v[190:191]
	s_delay_alu instid0(VALU_DEP_4) | instskip(SKIP_1) | instid1(VALU_DEP_4)
	v_fma_f64 v[94:95], v[225:226], s[30:31], v[6:7]
	v_fma_f64 v[6:7], v[225:226], s[24:25], v[6:7]
	v_add_f64_e32 v[24:25], v[24:25], v[12:13]
	v_fma_f64 v[12:13], v[219:220], s[8:9], -v[64:65]
	s_delay_alu instid0(VALU_DEP_4)
	v_add_f64_e32 v[162:163], v[94:95], v[118:119]
	v_mul_f64_e32 v[94:95], s[42:43], v[180:181]
	v_mul_f64_e32 v[180:181], s[20:21], v[182:183]
	;; [unrolled: 1-line block ×6, first 2 shown]
	v_add_f64_e32 v[12:13], v[12:13], v[14:15]
	v_add_f64_e32 v[14:15], v[26:27], v[24:25]
	v_fma_f64 v[24:25], v[140:141], s[10:11], -v[229:230]
	v_fma_f64 v[26:27], v[225:226], s[42:43], v[245:246]
	v_fma_f64 v[118:119], v[140:141], s[20:21], v[94:95]
	;; [unrolled: 1-line block ×3, first 2 shown]
	v_fma_f64 v[94:95], v[140:141], s[20:21], -v[94:95]
	v_add_f64_e32 v[18:19], v[24:25], v[18:19]
	v_fma_f64 v[24:25], v[144:145], s[24:25], v[172:173]
	v_add_f64_e32 v[118:119], v[118:119], v[166:167]
	v_add_f64_e32 v[164:165], v[164:165], v[168:169]
	v_mul_f64_e32 v[168:169], s[38:39], v[184:185]
	v_mul_f64_e32 v[184:185], s[40:41], v[193:194]
	;; [unrolled: 1-line block ×4, first 2 shown]
	v_add_f64_e32 v[94:95], v[94:95], v[170:171]
	v_fma_f64 v[170:171], v[225:226], s[36:37], v[211:212]
	v_add_f64_e32 v[16:17], v[24:25], v[16:17]
	v_fma_f64 v[24:25], v[148:149], s[2:3], -v[231:232]
	v_fma_f64 v[166:167], v[148:149], s[8:9], v[168:169]
	v_fma_f64 v[168:169], v[148:149], s[8:9], -v[168:169]
	s_delay_alu instid0(VALU_DEP_3) | instskip(SKIP_1) | instid1(VALU_DEP_4)
	v_add_f64_e32 v[18:19], v[24:25], v[18:19]
	v_fma_f64 v[24:25], v[188:189], s[28:29], v[233:234]
	v_add_f64_e32 v[118:119], v[166:167], v[118:119]
	v_fma_f64 v[166:167], v[188:189], s[26:27], v[182:183]
	v_add_f64_e32 v[94:95], v[168:169], v[94:95]
	v_fma_f64 v[168:169], v[188:189], s[38:39], v[182:183]
	v_add_f64_e32 v[16:17], v[24:25], v[16:17]
	v_fma_f64 v[24:25], v[195:196], s[8:9], -v[235:236]
	v_add_f64_e32 v[164:165], v[166:167], v[164:165]
	v_fma_f64 v[166:167], v[195:196], s[16:17], v[184:185]
	s_delay_alu instid0(VALU_DEP_3) | instskip(SKIP_1) | instid1(VALU_DEP_3)
	v_add_f64_e32 v[18:19], v[24:25], v[18:19]
	v_fma_f64 v[24:25], v[201:202], s[26:27], v[237:238]
	v_add_f64_e32 v[118:119], v[166:167], v[118:119]
	v_fma_f64 v[166:167], v[201:202], s[34:35], v[186:187]
	s_delay_alu instid0(VALU_DEP_3) | instskip(SKIP_1) | instid1(VALU_DEP_3)
	v_add_f64_e32 v[16:17], v[24:25], v[16:17]
	v_fma_f64 v[24:25], v[207:208], s[18:19], -v[239:240]
	v_add_f64_e32 v[164:165], v[166:167], v[164:165]
	v_fma_f64 v[166:167], v[207:208], s[10:11], v[193:194]
	s_delay_alu instid0(VALU_DEP_3) | instskip(SKIP_1) | instid1(VALU_DEP_3)
	v_add_f64_e32 v[18:19], v[24:25], v[18:19]
	v_fma_f64 v[24:25], v[213:214], s[36:37], v[241:242]
	v_add_f64_e32 v[118:119], v[166:167], v[118:119]
	v_fma_f64 v[166:167], v[213:214], s[30:31], v[199:200]
	s_delay_alu instid0(VALU_DEP_3) | instskip(SKIP_1) | instid1(VALU_DEP_3)
	v_add_f64_e32 v[24:25], v[24:25], v[16:17]
	v_fma_f64 v[16:17], v[219:220], s[20:21], -v[243:244]
	v_add_f64_e32 v[166:167], v[166:167], v[164:165]
	v_fma_f64 v[164:165], v[219:220], s[18:19], v[205:206]
	s_delay_alu instid0(VALU_DEP_3)
	v_add_f64_e32 v[16:17], v[16:17], v[18:19]
	v_add_f64_e32 v[18:19], v[26:27], v[24:25]
	v_fma_f64 v[24:25], v[140:141], s[16:17], v[142:143]
	v_fma_f64 v[26:27], v[144:145], s[40:41], v[146:147]
	v_add_f64_e32 v[164:165], v[164:165], v[118:119]
	v_fma_f64 v[118:119], v[225:226], s[44:45], v[211:212]
	s_delay_alu instid0(VALU_DEP_4) | instskip(NEXT) | instid1(VALU_DEP_4)
	v_add_f64_e32 v[24:25], v[24:25], v[62:63]
	v_add_f64_e32 v[26:27], v[26:27], v[138:139]
	v_fma_f64 v[62:63], v[195:196], s[10:11], v[197:198]
	s_delay_alu instid0(VALU_DEP_4)
	v_add_f64_e32 v[166:167], v[118:119], v[166:167]
	v_fma_f64 v[118:119], v[144:145], s[42:43], v[180:181]
	v_add_f64_e32 v[24:25], v[28:29], v[24:25]
	v_fma_f64 v[28:29], v[201:202], s[30:31], v[203:204]
	;; [unrolled: 2-line block ×3, first 2 shown]
	v_add_f64_e32 v[118:119], v[118:119], v[178:179]
	v_add_f64_e32 v[24:25], v[62:63], v[24:25]
	v_fma_f64 v[62:63], v[213:214], s[26:27], v[215:216]
	v_add_f64_e32 v[26:27], v[28:29], v[26:27]
	v_fma_f64 v[28:29], v[219:220], s[2:3], v[221:222]
	v_add_f64_e32 v[118:119], v[168:169], v[118:119]
	v_fma_f64 v[168:169], v[195:196], s[16:17], -v[184:185]
	v_add_f64_e32 v[24:25], v[30:31], v[24:25]
	v_fma_f64 v[30:31], v[225:226], s[22:23], v[227:228]
	v_add_f64_e32 v[26:27], v[62:63], v[26:27]
	s_delay_alu instid0(VALU_DEP_4)
	v_add_f64_e32 v[94:95], v[168:169], v[94:95]
	v_fma_f64 v[168:169], v[201:202], s[40:41], v[186:187]
	v_add_f64_e32 v[138:139], v[28:29], v[24:25]
	v_add_f64_e32 v[24:25], v[50:51], v[130:131]
	;; [unrolled: 1-line block ×5, first 2 shown]
	v_fma_f64 v[168:169], v[207:208], s[10:11], -v[193:194]
	v_add_f64_e32 v[24:25], v[24:25], v[132:133]
	s_delay_alu instid0(VALU_DEP_4) | instskip(NEXT) | instid1(VALU_DEP_3)
	v_add_f64_e32 v[26:27], v[26:27], v[134:135]
	v_add_f64_e32 v[94:95], v[168:169], v[94:95]
	v_fma_f64 v[168:169], v[213:214], s[24:25], v[199:200]
	s_delay_alu instid0(VALU_DEP_4) | instskip(NEXT) | instid1(VALU_DEP_4)
	v_add_f64_e32 v[24:25], v[24:25], v[52:53]
	v_add_f64_e32 v[26:27], v[26:27], v[54:55]
	s_delay_alu instid0(VALU_DEP_3) | instskip(SKIP_1) | instid1(VALU_DEP_4)
	v_add_f64_e32 v[118:119], v[168:169], v[118:119]
	v_fma_f64 v[168:169], v[219:220], s[18:19], -v[205:206]
	v_add_f64_e32 v[24:25], v[24:25], v[136:137]
	s_delay_alu instid0(VALU_DEP_4) | instskip(NEXT) | instid1(VALU_DEP_4)
	v_add_f64_e32 v[26:27], v[26:27], v[56:57]
	v_add_f64_e32 v[170:171], v[170:171], v[118:119]
	s_delay_alu instid0(VALU_DEP_4) | instskip(SKIP_3) | instid1(VALU_DEP_3)
	v_add_f64_e32 v[168:169], v[168:169], v[94:95]
	v_fma_f64 v[94:95], v[144:145], s[36:37], v[116:117]
	v_add_f64_e32 v[24:25], v[24:25], v[58:59]
	v_add_f64_e32 v[26:27], v[26:27], v[40:41]
	;; [unrolled: 1-line block ×3, first 2 shown]
	s_delay_alu instid0(VALU_DEP_3) | instskip(NEXT) | instid1(VALU_DEP_3)
	v_add_f64_e32 v[24:25], v[24:25], v[42:43]
	v_add_f64_e32 v[26:27], v[26:27], v[48:49]
	s_delay_alu instid0(VALU_DEP_3) | instskip(NEXT) | instid1(VALU_DEP_3)
	v_add_f64_e32 v[80:81], v[80:81], v[94:95]
	v_add_f64_e32 v[24:25], v[24:25], v[36:37]
	;; [unrolled: 3-line block ×3, first 2 shown]
	v_fma_f64 v[82:83], v[207:208], s[20:21], -v[88:89]
	s_delay_alu instid0(VALU_DEP_4) | instskip(NEXT) | instid1(VALU_DEP_4)
	v_add_f64_e32 v[24:25], v[24:25], v[32:33]
	v_add_f64_e32 v[26:27], v[26:27], v[34:35]
	s_delay_alu instid0(VALU_DEP_3) | instskip(SKIP_1) | instid1(VALU_DEP_4)
	v_add_f64_e32 v[4:5], v[82:83], v[4:5]
	v_fma_f64 v[82:83], v[213:214], s[42:43], v[90:91]
	v_add_f64_e32 v[24:25], v[24:25], v[44:45]
	s_delay_alu instid0(VALU_DEP_4) | instskip(NEXT) | instid1(VALU_DEP_3)
	v_add_f64_e32 v[26:27], v[26:27], v[46:47]
	v_add_f64_e32 v[80:81], v[82:83], v[80:81]
	v_fma_f64 v[82:83], v[219:220], s[10:11], -v[92:93]
	s_delay_alu instid0(VALU_DEP_4) | instskip(NEXT) | instid1(VALU_DEP_4)
	v_add_f64_e32 v[24:25], v[24:25], v[126:127]
	v_add_f64_e32 v[26:27], v[26:27], v[124:125]
	s_delay_alu instid0(VALU_DEP_4) | instskip(NEXT) | instid1(VALU_DEP_4)
	v_add_f64_e32 v[6:7], v[6:7], v[80:81]
	v_add_f64_e32 v[4:5], v[82:83], v[4:5]
	;; [unrolled: 3-line block ×3, first 2 shown]
	ds_store_b128 v192, v[20:23] offset:544
	ds_store_b128 v192, v[152:155] offset:816
	;; [unrolled: 1-line block ×12, first 2 shown]
	ds_store_b128 v192, v[32:35]
	global_wb scope:SCOPE_SE
	s_wait_dscnt 0x0
	s_barrier_signal -1
	s_barrier_wait -1
	global_inv scope:SCOPE_SE
	ds_load_b128 v[32:35], v255
	ds_load_b128 v[60:63], v255 offset:3536
	ds_load_b128 v[48:51], v255 offset:7072
	;; [unrolled: 1-line block ×7, first 2 shown]
	s_and_saveexec_b32 s1, s0
	s_cbranch_execz .LBB0_19
; %bb.18:
	ds_load_b128 v[4:7], v255 offset:2176
	ds_load_b128 v[8:11], v255 offset:5712
	;; [unrolled: 1-line block ×6, first 2 shown]
	s_wait_dscnt 0x0
	scratch_store_b128 off, v[20:23], off offset:60 ; 16-byte Folded Spill
	ds_load_b128 v[20:23], v255 offset:23392
	s_wait_dscnt 0x0
	scratch_store_b128 off, v[20:23], off offset:44 ; 16-byte Folded Spill
	ds_load_b128 v[20:23], v255 offset:26928
	s_wait_dscnt 0x0
	scratch_store_b128 off, v[20:23], off offset:28 ; 16-byte Folded Spill
.LBB0_19:
	s_wait_alu 0xfffe
	s_or_b32 exec_lo, exec_lo, s1
	s_clause 0x2
	scratch_load_b128 v[84:87], off, off offset:268 th:TH_LOAD_LU
	scratch_load_b128 v[80:83], off, off offset:252 th:TH_LOAD_LU
	;; [unrolled: 1-line block ×3, first 2 shown]
	s_wait_dscnt 0x6
	v_mul_f64_e32 v[20:21], v[98:99], v[62:63]
	v_mul_f64_e32 v[22:23], v[98:99], v[60:61]
	s_wait_dscnt 0x1
	v_mul_f64_e32 v[64:65], v[102:103], v[58:59]
	v_mul_f64_e32 v[66:67], v[102:103], v[56:57]
	;; [unrolled: 1-line block ×4, first 2 shown]
	s_mov_b32 s2, 0x667f3bcd
	s_mov_b32 s3, 0xbfe6a09e
	;; [unrolled: 1-line block ×3, first 2 shown]
	s_wait_alu 0xfffe
	s_mov_b32 s8, s2
	v_fma_f64 v[20:21], v[96:97], v[60:61], v[20:21]
	v_fma_f64 v[22:23], v[96:97], v[62:63], -v[22:23]
	s_delay_alu instid0(VALU_DEP_4) | instskip(NEXT) | instid1(VALU_DEP_4)
	v_fma_f64 v[44:45], v[104:105], v[44:45], v[68:69]
	v_fma_f64 v[46:47], v[104:105], v[46:47], -v[70:71]
	s_delay_alu instid0(VALU_DEP_2) | instskip(NEXT) | instid1(VALU_DEP_2)
	v_add_f64_e64 v[44:45], v[20:21], -v[44:45]
	v_add_f64_e64 v[46:47], v[22:23], -v[46:47]
	s_delay_alu instid0(VALU_DEP_2) | instskip(NEXT) | instid1(VALU_DEP_2)
	v_fma_f64 v[20:21], v[20:21], 2.0, -v[44:45]
	v_fma_f64 v[22:23], v[22:23], 2.0, -v[46:47]
	s_wait_loadcnt 0x2
	v_mul_f64_e32 v[24:25], v[86:87], v[50:51]
	v_mul_f64_e32 v[26:27], v[86:87], v[48:49]
	scratch_load_b128 v[86:89], off, off offset:284 th:TH_LOAD_LU ; 16-byte Folded Reload
	s_wait_loadcnt 0x1
	v_mul_f64_e32 v[28:29], v[92:93], v[54:55]
	v_mul_f64_e32 v[30:31], v[92:93], v[52:53]
	;; [unrolled: 1-line block ×4, first 2 shown]
	v_fma_f64 v[24:25], v[84:85], v[48:49], v[24:25]
	v_fma_f64 v[26:27], v[84:85], v[50:51], -v[26:27]
	v_fma_f64 v[48:49], v[100:101], v[56:57], v[64:65]
	v_fma_f64 v[28:29], v[90:91], v[52:53], v[28:29]
	v_fma_f64 v[30:31], v[90:91], v[54:55], -v[30:31]
	v_fma_f64 v[50:51], v[100:101], v[58:59], -v[66:67]
	v_fma_f64 v[36:37], v[80:81], v[36:37], v[72:73]
	v_fma_f64 v[38:39], v[80:81], v[38:39], -v[74:75]
	v_add_f64_e64 v[48:49], v[24:25], -v[48:49]
	v_add_f64_e64 v[28:29], v[32:33], -v[28:29]
	;; [unrolled: 1-line block ×4, first 2 shown]
	s_delay_alu instid0(VALU_DEP_4) | instskip(NEXT) | instid1(VALU_DEP_4)
	v_fma_f64 v[24:25], v[24:25], 2.0, -v[48:49]
	v_fma_f64 v[32:33], v[32:33], 2.0, -v[28:29]
	s_delay_alu instid0(VALU_DEP_4) | instskip(NEXT) | instid1(VALU_DEP_4)
	v_fma_f64 v[34:35], v[34:35], 2.0, -v[30:31]
	v_fma_f64 v[26:27], v[26:27], 2.0, -v[50:51]
	v_add_f64_e32 v[50:51], v[28:29], v[50:51]
	v_add_f64_e64 v[52:53], v[30:31], -v[48:49]
	v_add_f64_e64 v[24:25], v[32:33], -v[24:25]
	s_delay_alu instid0(VALU_DEP_4) | instskip(NEXT) | instid1(VALU_DEP_4)
	v_add_f64_e64 v[26:27], v[34:35], -v[26:27]
	v_fma_f64 v[28:29], v[28:29], 2.0, -v[50:51]
	s_delay_alu instid0(VALU_DEP_4) | instskip(NEXT) | instid1(VALU_DEP_4)
	v_fma_f64 v[30:31], v[30:31], 2.0, -v[52:53]
	v_fma_f64 v[56:57], v[32:33], 2.0, -v[24:25]
	s_delay_alu instid0(VALU_DEP_4) | instskip(SKIP_3) | instid1(VALU_DEP_2)
	v_fma_f64 v[58:59], v[34:35], 2.0, -v[26:27]
	s_wait_loadcnt_dscnt 0x0
	v_mul_f64_e32 v[76:77], v[88:89], v[42:43]
	v_mul_f64_e32 v[78:79], v[88:89], v[40:41]
	v_fma_f64 v[40:41], v[86:87], v[40:41], v[76:77]
	s_delay_alu instid0(VALU_DEP_2) | instskip(NEXT) | instid1(VALU_DEP_2)
	v_fma_f64 v[42:43], v[86:87], v[42:43], -v[78:79]
	v_add_f64_e64 v[40:41], v[36:37], -v[40:41]
	s_delay_alu instid0(VALU_DEP_2) | instskip(NEXT) | instid1(VALU_DEP_2)
	v_add_f64_e64 v[42:43], v[38:39], -v[42:43]
	v_fma_f64 v[36:37], v[36:37], 2.0, -v[40:41]
	s_delay_alu instid0(VALU_DEP_2) | instskip(SKIP_2) | instid1(VALU_DEP_4)
	v_fma_f64 v[38:39], v[38:39], 2.0, -v[42:43]
	v_add_f64_e32 v[42:43], v[44:45], v[42:43]
	v_add_f64_e64 v[40:41], v[46:47], -v[40:41]
	v_add_f64_e64 v[36:37], v[20:21], -v[36:37]
	s_delay_alu instid0(VALU_DEP_4) | instskip(NEXT) | instid1(VALU_DEP_4)
	v_add_f64_e64 v[38:39], v[22:23], -v[38:39]
	v_fma_f64 v[44:45], v[44:45], 2.0, -v[42:43]
	s_delay_alu instid0(VALU_DEP_4)
	v_fma_f64 v[46:47], v[46:47], 2.0, -v[40:41]
	s_wait_alu 0xfffe
	v_fma_f64 v[48:49], v[42:43], s[8:9], v[50:51]
	v_fma_f64 v[54:55], v[40:41], s[8:9], v[52:53]
	v_fma_f64 v[60:61], v[20:21], 2.0, -v[36:37]
	v_fma_f64 v[62:63], v[22:23], 2.0, -v[38:39]
	v_fma_f64 v[64:65], v[44:45], s[2:3], v[28:29]
	v_fma_f64 v[66:67], v[46:47], s[2:3], v[30:31]
	v_add_f64_e32 v[20:21], v[24:25], v[38:39]
	v_add_f64_e64 v[22:23], v[26:27], -v[36:37]
	v_fma_f64 v[32:33], v[40:41], s[8:9], v[48:49]
	v_fma_f64 v[34:35], v[42:43], s[2:3], v[54:55]
	v_add_f64_e64 v[36:37], v[56:57], -v[60:61]
	v_add_f64_e64 v[38:39], v[58:59], -v[62:63]
	v_fma_f64 v[40:41], v[46:47], s[8:9], v[64:65]
	v_fma_f64 v[42:43], v[44:45], s[2:3], v[66:67]
	v_fma_f64 v[44:45], v[24:25], 2.0, -v[20:21]
	v_fma_f64 v[46:47], v[26:27], 2.0, -v[22:23]
	;; [unrolled: 1-line block ×8, first 2 shown]
	ds_store_b128 v255, v[44:47] offset:7072
	ds_store_b128 v255, v[48:51] offset:10608
	;; [unrolled: 1-line block ×4, first 2 shown]
	ds_store_b128 v255, v[52:55]
	ds_store_b128 v255, v[56:59] offset:3536
	ds_store_b128 v255, v[20:23] offset:21216
	;; [unrolled: 1-line block ×3, first 2 shown]
	s_and_saveexec_b32 s1, s0
	s_cbranch_execz .LBB0_21
; %bb.20:
	s_clause 0x9
	scratch_load_b128 v[48:51], off, off offset:320 th:TH_LOAD_LU
	scratch_load_b128 v[52:55], off, off offset:336 th:TH_LOAD_LU
	;; [unrolled: 1-line block ×10, first 2 shown]
	s_wait_loadcnt 0x9
	v_mul_f64_e32 v[20:21], v[50:51], v[0:1]
	s_wait_loadcnt 0x8
	v_mul_f64_e32 v[22:23], v[54:55], v[14:15]
	;; [unrolled: 2-line block ×7, first 2 shown]
	v_mul_f64_e32 v[34:35], v[58:59], v[10:11]
	v_mul_f64_e32 v[36:37], v[54:55], v[12:13]
	;; [unrolled: 1-line block ×7, first 2 shown]
	v_fma_f64 v[2:3], v[48:49], v[2:3], -v[20:21]
	v_fma_f64 v[12:13], v[52:53], v[12:13], v[22:23]
	v_fma_f64 v[20:21], v[60:61], v[80:81], v[24:25]
	v_fma_f64 v[10:11], v[56:57], v[10:11], -v[26:27]
	v_fma_f64 v[22:23], v[72:73], v[86:87], -v[28:29]
	v_fma_f64 v[16:17], v[64:65], v[16:17], v[30:31]
	v_fma_f64 v[24:25], v[68:69], v[76:77], v[32:33]
	;; [unrolled: 1-line block ×3, first 2 shown]
	v_fma_f64 v[14:15], v[52:53], v[14:15], -v[36:37]
	v_fma_f64 v[26:27], v[60:61], v[82:83], -v[38:39]
	v_fma_f64 v[28:29], v[72:73], v[84:85], v[40:41]
	v_fma_f64 v[0:1], v[48:49], v[0:1], v[42:43]
	v_fma_f64 v[18:19], v[64:65], v[18:19], -v[44:45]
	v_fma_f64 v[30:31], v[68:69], v[78:79], -v[46:47]
	v_add_f64_e64 v[2:3], v[6:7], -v[2:3]
	v_add_f64_e64 v[20:21], v[12:13], -v[20:21]
	;; [unrolled: 1-line block ×8, first 2 shown]
	v_fma_f64 v[6:7], v[6:7], 2.0, -v[2:3]
	v_add_f64_e64 v[32:33], v[2:3], -v[20:21]
	v_fma_f64 v[12:13], v[12:13], 2.0, -v[20:21]
	v_fma_f64 v[10:11], v[10:11], 2.0, -v[22:23]
	v_add_f64_e64 v[34:35], v[22:23], -v[24:25]
	v_fma_f64 v[16:17], v[16:17], 2.0, -v[24:25]
	v_fma_f64 v[14:15], v[14:15], 2.0, -v[26:27]
	;; [unrolled: 1-line block ×4, first 2 shown]
	v_add_f64_e32 v[24:25], v[26:27], v[0:1]
	v_fma_f64 v[18:19], v[18:19], 2.0, -v[30:31]
	v_add_f64_e32 v[20:21], v[30:31], v[28:29]
	v_fma_f64 v[30:31], v[2:3], 2.0, -v[32:33]
	v_fma_f64 v[22:23], v[22:23], 2.0, -v[34:35]
	v_add_f64_e64 v[26:27], v[6:7], -v[14:15]
	v_add_f64_e64 v[14:15], v[8:9], -v[16:17]
	;; [unrolled: 1-line block ×3, first 2 shown]
	v_fma_f64 v[38:39], v[0:1], 2.0, -v[24:25]
	v_add_f64_e64 v[16:17], v[10:11], -v[18:19]
	v_fma_f64 v[12:13], v[28:29], 2.0, -v[20:21]
	v_fma_f64 v[0:1], v[34:35], s[8:9], v[32:33]
	v_fma_f64 v[18:19], v[20:21], s[8:9], v[24:25]
	;; [unrolled: 1-line block ×3, first 2 shown]
	v_fma_f64 v[40:41], v[6:7], 2.0, -v[26:27]
	v_fma_f64 v[8:9], v[8:9], 2.0, -v[14:15]
	v_fma_f64 v[44:45], v[4:5], 2.0, -v[36:37]
	v_add_f64_e64 v[6:7], v[26:27], -v[14:15]
	v_fma_f64 v[42:43], v[10:11], 2.0, -v[16:17]
	v_fma_f64 v[46:47], v[12:13], s[2:3], v[38:39]
	v_add_f64_e32 v[4:5], v[36:37], v[16:17]
	v_fma_f64 v[2:3], v[20:21], s[2:3], v[0:1]
	v_fma_f64 v[0:1], v[34:35], s[8:9], v[18:19]
	;; [unrolled: 1-line block ×3, first 2 shown]
	v_add_f64_e64 v[12:13], v[44:45], -v[8:9]
	v_add_f64_e64 v[14:15], v[40:41], -v[42:43]
	v_fma_f64 v[8:9], v[22:23], s[8:9], v[46:47]
	v_fma_f64 v[22:23], v[26:27], 2.0, -v[6:7]
	v_fma_f64 v[20:21], v[36:37], 2.0, -v[4:5]
	;; [unrolled: 1-line block ×8, first 2 shown]
	ds_store_b128 v255, v[20:23] offset:9248
	ds_store_b128 v255, v[16:19] offset:12784
	;; [unrolled: 1-line block ×8, first 2 shown]
.LBB0_21:
	s_wait_alu 0xfffe
	s_or_b32 exec_lo, exec_lo, s1
	global_wb scope:SCOPE_SE
	s_wait_storecnt_dscnt 0x0
	s_barrier_signal -1
	s_barrier_wait -1
	global_inv scope:SCOPE_SE
	s_and_b32 exec_lo, exec_lo, vcc_lo
	s_cbranch_execz .LBB0_23
; %bb.22:
	global_load_b128 v[0:3], v255, s[12:13]
	ds_load_b128 v[4:7], v255
	ds_load_b128 v[8:11], v255 offset:1664
	ds_load_b128 v[12:15], v255 offset:26624
	s_mov_b32 s0, 0x1288b013
	s_mov_b32 s1, 0x3f4288b0
	s_mul_u64 s[2:3], s[4:5], 0x680
	scratch_load_b32 v19, off, off th:TH_LOAD_LU ; 4-byte Folded Reload
	s_wait_loadcnt_dscnt 0x102
	v_mul_f64_e32 v[16:17], v[6:7], v[2:3]
	v_mul_f64_e32 v[2:3], v[4:5], v[2:3]
	s_delay_alu instid0(VALU_DEP_2) | instskip(NEXT) | instid1(VALU_DEP_2)
	v_fma_f64 v[4:5], v[4:5], v[0:1], v[16:17]
	v_fma_f64 v[2:3], v[0:1], v[6:7], -v[2:3]
	scratch_load_b64 v[0:1], off, off offset:4 th:TH_LOAD_LU ; 8-byte Folded Reload
	s_wait_loadcnt 0x1
	v_mad_co_u64_u32 v[16:17], null, s4, v19, 0
	s_wait_alu 0xfffe
	v_mul_f64_e32 v[2:3], s[0:1], v[2:3]
	s_wait_loadcnt 0x0
	v_mov_b32_e32 v18, v0
	v_mul_f64_e32 v[0:1], s[0:1], v[4:5]
	s_delay_alu instid0(VALU_DEP_4) | instskip(NEXT) | instid1(VALU_DEP_3)
	v_mov_b32_e32 v5, v17
	v_mad_co_u64_u32 v[6:7], null, s6, v18, 0
	s_delay_alu instid0(VALU_DEP_1) | instskip(NEXT) | instid1(VALU_DEP_1)
	v_mov_b32_e32 v4, v7
	v_mad_co_u64_u32 v[17:18], null, s7, v18, v[4:5]
	s_delay_alu instid0(VALU_DEP_3) | instskip(NEXT) | instid1(VALU_DEP_2)
	v_mad_co_u64_u32 v[4:5], null, s5, v19, v[5:6]
	v_mov_b32_e32 v7, v17
	s_delay_alu instid0(VALU_DEP_2) | instskip(NEXT) | instid1(VALU_DEP_2)
	v_mov_b32_e32 v17, v4
	v_lshlrev_b64_e32 v[4:5], 4, v[6:7]
	s_delay_alu instid0(VALU_DEP_2) | instskip(NEXT) | instid1(VALU_DEP_2)
	v_lshlrev_b64_e32 v[6:7], 4, v[16:17]
	v_add_co_u32 v20, vcc_lo, s14, v4
	s_delay_alu instid0(VALU_DEP_3) | instskip(NEXT) | instid1(VALU_DEP_2)
	v_add_co_ci_u32_e32 v21, vcc_lo, s15, v5, vcc_lo
	v_add_co_u32 v4, vcc_lo, v20, v6
	s_wait_alu 0xfffd
	s_delay_alu instid0(VALU_DEP_2) | instskip(NEXT) | instid1(VALU_DEP_2)
	v_add_co_ci_u32_e32 v5, vcc_lo, v21, v7, vcc_lo
	v_add_co_u32 v16, vcc_lo, v4, s2
	global_store_b128 v[4:5], v[0:3], off
	s_wait_alu 0xfffd
	v_add_co_ci_u32_e32 v17, vcc_lo, s3, v5, vcc_lo
	global_load_b128 v[0:3], v255, s[12:13] offset:1664
	s_wait_loadcnt_dscnt 0x1
	v_mul_f64_e32 v[6:7], v[10:11], v[2:3]
	v_mul_f64_e32 v[2:3], v[8:9], v[2:3]
	s_delay_alu instid0(VALU_DEP_2) | instskip(NEXT) | instid1(VALU_DEP_2)
	v_fma_f64 v[6:7], v[8:9], v[0:1], v[6:7]
	v_fma_f64 v[2:3], v[0:1], v[10:11], -v[2:3]
	s_delay_alu instid0(VALU_DEP_2) | instskip(NEXT) | instid1(VALU_DEP_2)
	v_mul_f64_e32 v[0:1], s[0:1], v[6:7]
	v_mul_f64_e32 v[2:3], s[0:1], v[2:3]
	global_store_b128 v[16:17], v[0:3], off
	global_load_b128 v[0:3], v255, s[12:13] offset:3328
	ds_load_b128 v[4:7], v255 offset:3328
	ds_load_b128 v[8:11], v255 offset:4992
	s_wait_loadcnt_dscnt 0x1
	v_mul_f64_e32 v[18:19], v[6:7], v[2:3]
	v_mul_f64_e32 v[2:3], v[4:5], v[2:3]
	s_delay_alu instid0(VALU_DEP_2) | instskip(NEXT) | instid1(VALU_DEP_2)
	v_fma_f64 v[4:5], v[4:5], v[0:1], v[18:19]
	v_fma_f64 v[2:3], v[0:1], v[6:7], -v[2:3]
	s_delay_alu instid0(VALU_DEP_2) | instskip(NEXT) | instid1(VALU_DEP_2)
	v_mul_f64_e32 v[0:1], s[0:1], v[4:5]
	v_mul_f64_e32 v[2:3], s[0:1], v[2:3]
	v_add_co_u32 v4, vcc_lo, v16, s2
	s_wait_alu 0xfffd
	v_add_co_ci_u32_e32 v5, vcc_lo, s3, v17, vcc_lo
	s_delay_alu instid0(VALU_DEP_2) | instskip(SKIP_1) | instid1(VALU_DEP_2)
	v_add_co_u32 v16, vcc_lo, v4, s2
	s_wait_alu 0xfffd
	v_add_co_ci_u32_e32 v17, vcc_lo, s3, v5, vcc_lo
	global_store_b128 v[4:5], v[0:3], off
	global_load_b128 v[0:3], v255, s[12:13] offset:4992
	s_wait_loadcnt_dscnt 0x0
	v_mul_f64_e32 v[6:7], v[10:11], v[2:3]
	v_mul_f64_e32 v[2:3], v[8:9], v[2:3]
	s_delay_alu instid0(VALU_DEP_2) | instskip(NEXT) | instid1(VALU_DEP_2)
	v_fma_f64 v[6:7], v[8:9], v[0:1], v[6:7]
	v_fma_f64 v[2:3], v[0:1], v[10:11], -v[2:3]
	s_delay_alu instid0(VALU_DEP_2) | instskip(NEXT) | instid1(VALU_DEP_2)
	v_mul_f64_e32 v[0:1], s[0:1], v[6:7]
	v_mul_f64_e32 v[2:3], s[0:1], v[2:3]
	global_store_b128 v[16:17], v[0:3], off
	global_load_b128 v[0:3], v255, s[12:13] offset:6656
	ds_load_b128 v[4:7], v255 offset:6656
	ds_load_b128 v[8:11], v255 offset:8320
	s_wait_loadcnt_dscnt 0x1
	v_mul_f64_e32 v[18:19], v[6:7], v[2:3]
	v_mul_f64_e32 v[2:3], v[4:5], v[2:3]
	s_delay_alu instid0(VALU_DEP_2) | instskip(NEXT) | instid1(VALU_DEP_2)
	v_fma_f64 v[4:5], v[4:5], v[0:1], v[18:19]
	v_fma_f64 v[2:3], v[0:1], v[6:7], -v[2:3]
	s_delay_alu instid0(VALU_DEP_2) | instskip(NEXT) | instid1(VALU_DEP_2)
	v_mul_f64_e32 v[0:1], s[0:1], v[4:5]
	v_mul_f64_e32 v[2:3], s[0:1], v[2:3]
	v_add_co_u32 v4, vcc_lo, v16, s2
	s_wait_alu 0xfffd
	v_add_co_ci_u32_e32 v5, vcc_lo, s3, v17, vcc_lo
	s_delay_alu instid0(VALU_DEP_2) | instskip(SKIP_1) | instid1(VALU_DEP_2)
	v_add_co_u32 v16, vcc_lo, v4, s2
	s_wait_alu 0xfffd
	v_add_co_ci_u32_e32 v17, vcc_lo, s3, v5, vcc_lo
	global_store_b128 v[4:5], v[0:3], off
	;; [unrolled: 31-line block ×6, first 2 shown]
	global_load_b128 v[0:3], v255, s[12:13] offset:21632
	s_wait_loadcnt_dscnt 0x0
	v_mul_f64_e32 v[6:7], v[10:11], v[2:3]
	v_mul_f64_e32 v[2:3], v[8:9], v[2:3]
	s_delay_alu instid0(VALU_DEP_2) | instskip(NEXT) | instid1(VALU_DEP_2)
	v_fma_f64 v[6:7], v[8:9], v[0:1], v[6:7]
	v_fma_f64 v[2:3], v[0:1], v[10:11], -v[2:3]
	s_delay_alu instid0(VALU_DEP_2) | instskip(NEXT) | instid1(VALU_DEP_2)
	v_mul_f64_e32 v[0:1], s[0:1], v[6:7]
	v_mul_f64_e32 v[2:3], s[0:1], v[2:3]
	global_store_b128 v[16:17], v[0:3], off
	global_load_b128 v[0:3], v255, s[12:13] offset:23296
	ds_load_b128 v[4:7], v255 offset:23296
	ds_load_b128 v[8:11], v255 offset:24960
	s_wait_loadcnt_dscnt 0x1
	v_mul_f64_e32 v[18:19], v[6:7], v[2:3]
	v_mul_f64_e32 v[2:3], v[4:5], v[2:3]
	s_delay_alu instid0(VALU_DEP_2) | instskip(NEXT) | instid1(VALU_DEP_2)
	v_fma_f64 v[4:5], v[4:5], v[0:1], v[18:19]
	v_fma_f64 v[2:3], v[0:1], v[6:7], -v[2:3]
	s_delay_alu instid0(VALU_DEP_2) | instskip(NEXT) | instid1(VALU_DEP_2)
	v_mul_f64_e32 v[0:1], s[0:1], v[4:5]
	v_mul_f64_e32 v[2:3], s[0:1], v[2:3]
	v_add_co_u32 v4, vcc_lo, v16, s2
	s_wait_alu 0xfffd
	v_add_co_ci_u32_e32 v5, vcc_lo, s3, v17, vcc_lo
	global_store_b128 v[4:5], v[0:3], off
	global_load_b128 v[0:3], v255, s[12:13] offset:24960
	v_add_co_u32 v4, vcc_lo, v4, s2
	s_wait_alu 0xfffd
	v_add_co_ci_u32_e32 v5, vcc_lo, s3, v5, vcc_lo
	s_wait_loadcnt_dscnt 0x0
	v_mul_f64_e32 v[6:7], v[10:11], v[2:3]
	v_mul_f64_e32 v[2:3], v[8:9], v[2:3]
	s_delay_alu instid0(VALU_DEP_2) | instskip(NEXT) | instid1(VALU_DEP_2)
	v_fma_f64 v[6:7], v[8:9], v[0:1], v[6:7]
	v_fma_f64 v[2:3], v[0:1], v[10:11], -v[2:3]
	scratch_load_b32 v8, off, off offset:316 th:TH_LOAD_LU ; 4-byte Folded Reload
	v_mul_f64_e32 v[0:1], s[0:1], v[6:7]
	v_mul_f64_e32 v[2:3], s[0:1], v[2:3]
	global_store_b128 v[4:5], v[0:3], off
	global_load_b128 v[0:3], v255, s[12:13] offset:26624
	s_wait_loadcnt 0x1
	v_mad_co_u64_u32 v[6:7], null, s4, v8, 0
	s_wait_loadcnt 0x0
	v_mul_f64_e32 v[4:5], v[14:15], v[2:3]
	v_mul_f64_e32 v[2:3], v[12:13], v[2:3]
	s_delay_alu instid0(VALU_DEP_2) | instskip(NEXT) | instid1(VALU_DEP_2)
	v_fma_f64 v[4:5], v[12:13], v[0:1], v[4:5]
	v_fma_f64 v[2:3], v[0:1], v[14:15], -v[2:3]
	s_delay_alu instid0(VALU_DEP_2) | instskip(SKIP_1) | instid1(VALU_DEP_3)
	v_mul_f64_e32 v[0:1], s[0:1], v[4:5]
	v_mov_b32_e32 v4, v7
	v_mul_f64_e32 v[2:3], s[0:1], v[2:3]
	s_delay_alu instid0(VALU_DEP_2) | instskip(NEXT) | instid1(VALU_DEP_1)
	v_mad_co_u64_u32 v[4:5], null, s5, v8, v[4:5]
	v_mov_b32_e32 v7, v4
	s_delay_alu instid0(VALU_DEP_1) | instskip(NEXT) | instid1(VALU_DEP_1)
	v_lshlrev_b64_e32 v[4:5], 4, v[6:7]
	v_add_co_u32 v4, vcc_lo, v20, v4
	s_wait_alu 0xfffd
	s_delay_alu instid0(VALU_DEP_2)
	v_add_co_ci_u32_e32 v5, vcc_lo, v21, v5, vcc_lo
	global_store_b128 v[4:5], v[0:3], off
.LBB0_23:
	s_endpgm
	.section	.rodata,"a",@progbits
	.p2align	6, 0x0
	.amdhsa_kernel bluestein_single_back_len1768_dim1_dp_op_CI_CI
		.amdhsa_group_segment_fixed_size 28288
		.amdhsa_private_segment_fixed_size 436
		.amdhsa_kernarg_size 104
		.amdhsa_user_sgpr_count 2
		.amdhsa_user_sgpr_dispatch_ptr 0
		.amdhsa_user_sgpr_queue_ptr 0
		.amdhsa_user_sgpr_kernarg_segment_ptr 1
		.amdhsa_user_sgpr_dispatch_id 0
		.amdhsa_user_sgpr_private_segment_size 0
		.amdhsa_wavefront_size32 1
		.amdhsa_uses_dynamic_stack 0
		.amdhsa_enable_private_segment 1
		.amdhsa_system_sgpr_workgroup_id_x 1
		.amdhsa_system_sgpr_workgroup_id_y 0
		.amdhsa_system_sgpr_workgroup_id_z 0
		.amdhsa_system_sgpr_workgroup_info 0
		.amdhsa_system_vgpr_workitem_id 0
		.amdhsa_next_free_vgpr 256
		.amdhsa_next_free_sgpr 60
		.amdhsa_reserve_vcc 1
		.amdhsa_float_round_mode_32 0
		.amdhsa_float_round_mode_16_64 0
		.amdhsa_float_denorm_mode_32 3
		.amdhsa_float_denorm_mode_16_64 3
		.amdhsa_fp16_overflow 0
		.amdhsa_workgroup_processor_mode 1
		.amdhsa_memory_ordered 1
		.amdhsa_forward_progress 0
		.amdhsa_round_robin_scheduling 0
		.amdhsa_exception_fp_ieee_invalid_op 0
		.amdhsa_exception_fp_denorm_src 0
		.amdhsa_exception_fp_ieee_div_zero 0
		.amdhsa_exception_fp_ieee_overflow 0
		.amdhsa_exception_fp_ieee_underflow 0
		.amdhsa_exception_fp_ieee_inexact 0
		.amdhsa_exception_int_div_zero 0
	.end_amdhsa_kernel
	.text
.Lfunc_end0:
	.size	bluestein_single_back_len1768_dim1_dp_op_CI_CI, .Lfunc_end0-bluestein_single_back_len1768_dim1_dp_op_CI_CI
                                        ; -- End function
	.section	.AMDGPU.csdata,"",@progbits
; Kernel info:
; codeLenInByte = 27324
; NumSgprs: 62
; NumVgprs: 256
; ScratchSize: 436
; MemoryBound: 0
; FloatMode: 240
; IeeeMode: 1
; LDSByteSize: 28288 bytes/workgroup (compile time only)
; SGPRBlocks: 7
; VGPRBlocks: 31
; NumSGPRsForWavesPerEU: 62
; NumVGPRsForWavesPerEU: 256
; Occupancy: 5
; WaveLimiterHint : 1
; COMPUTE_PGM_RSRC2:SCRATCH_EN: 1
; COMPUTE_PGM_RSRC2:USER_SGPR: 2
; COMPUTE_PGM_RSRC2:TRAP_HANDLER: 0
; COMPUTE_PGM_RSRC2:TGID_X_EN: 1
; COMPUTE_PGM_RSRC2:TGID_Y_EN: 0
; COMPUTE_PGM_RSRC2:TGID_Z_EN: 0
; COMPUTE_PGM_RSRC2:TIDIG_COMP_CNT: 0
	.text
	.p2alignl 7, 3214868480
	.fill 96, 4, 3214868480
	.type	__hip_cuid_b97905f15cb43af0,@object ; @__hip_cuid_b97905f15cb43af0
	.section	.bss,"aw",@nobits
	.globl	__hip_cuid_b97905f15cb43af0
__hip_cuid_b97905f15cb43af0:
	.byte	0                               ; 0x0
	.size	__hip_cuid_b97905f15cb43af0, 1

	.ident	"AMD clang version 19.0.0git (https://github.com/RadeonOpenCompute/llvm-project roc-6.4.0 25133 c7fe45cf4b819c5991fe208aaa96edf142730f1d)"
	.section	".note.GNU-stack","",@progbits
	.addrsig
	.addrsig_sym __hip_cuid_b97905f15cb43af0
	.amdgpu_metadata
---
amdhsa.kernels:
  - .args:
      - .actual_access:  read_only
        .address_space:  global
        .offset:         0
        .size:           8
        .value_kind:     global_buffer
      - .actual_access:  read_only
        .address_space:  global
        .offset:         8
        .size:           8
        .value_kind:     global_buffer
      - .actual_access:  read_only
        .address_space:  global
        .offset:         16
        .size:           8
        .value_kind:     global_buffer
      - .actual_access:  read_only
        .address_space:  global
        .offset:         24
        .size:           8
        .value_kind:     global_buffer
      - .actual_access:  read_only
        .address_space:  global
        .offset:         32
        .size:           8
        .value_kind:     global_buffer
      - .offset:         40
        .size:           8
        .value_kind:     by_value
      - .address_space:  global
        .offset:         48
        .size:           8
        .value_kind:     global_buffer
      - .address_space:  global
        .offset:         56
        .size:           8
        .value_kind:     global_buffer
      - .address_space:  global
        .offset:         64
        .size:           8
        .value_kind:     global_buffer
      - .address_space:  global
        .offset:         72
        .size:           8
        .value_kind:     global_buffer
      - .offset:         80
        .size:           4
        .value_kind:     by_value
      - .address_space:  global
        .offset:         88
        .size:           8
        .value_kind:     global_buffer
      - .address_space:  global
        .offset:         96
        .size:           8
        .value_kind:     global_buffer
    .group_segment_fixed_size: 28288
    .kernarg_segment_align: 8
    .kernarg_segment_size: 104
    .language:       OpenCL C
    .language_version:
      - 2
      - 0
    .max_flat_workgroup_size: 136
    .name:           bluestein_single_back_len1768_dim1_dp_op_CI_CI
    .private_segment_fixed_size: 436
    .sgpr_count:     62
    .sgpr_spill_count: 0
    .symbol:         bluestein_single_back_len1768_dim1_dp_op_CI_CI.kd
    .uniform_work_group_size: 1
    .uses_dynamic_stack: false
    .vgpr_count:     256
    .vgpr_spill_count: 152
    .wavefront_size: 32
    .workgroup_processor_mode: 1
amdhsa.target:   amdgcn-amd-amdhsa--gfx1201
amdhsa.version:
  - 1
  - 2
...

	.end_amdgpu_metadata
